;; amdgpu-corpus repo=ROCm/aiter kind=harvested arch=n/a opt=n/a

/root/src/amdgpu-assembly/repos/ROCm__aiter/hsa/gfx942/bf16gemm/bf16gemm_fp32bf16_tn_96x64_bshuffle_splitk_clean.co:	file format elf64-amdgpu

Disassembly of section .text:

0000000000002a00 <_ZN5aiter48bf16gemm_fp32bf16_tn_96x64_bshuffle_splitk_cleanE>:
	s_mov_b32 s53, s4                                          // 000000002A00: BEB50004
	s_and_b32 s1, s1, 0xffff                                   // 000000002A04: 8601FF01 0000FFFF
	s_load_dword s25, s[0:1], 0xe0                             // 000000002A0C: C0020640 000000E0
	s_load_dword s26, s[0:1], 0xf0                             // 000000002A14: C0020680 000000F0
	s_load_dword s27, s[0:1], 0x100                            // 000000002A1C: C00206C0 00000100
	s_load_dword s28, s[0:1], 0xa0                             // 000000002A24: C0020700 000000A0
	s_load_dword s29, s[0:1], 0xc0                             // 000000002A2C: C0020740 000000C0
	s_load_dword s30, s[0:1], 0x80                             // 000000002A34: C0020780 00000080
	s_load_dword s20, s[0:1], 0x40                             // 000000002A3C: C0020500 00000040
	s_load_dword s21, s[0:1], 0x50                             // 000000002A44: C0020540 00000050
	s_load_dwordx2 s[4:5], s[0:1], 0x20                        // 000000002A4C: C0060100 00000020
	s_load_dwordx2 s[8:9], s[0:1], 0x30                        // 000000002A54: C0060200 00000030
	s_load_dwordx2 s[12:13], s[0:1], 0x10                      // 000000002A5C: C0060300 00000010
	s_load_dwordx2 s[16:17], s[0:1], 0x0                       // 000000002A64: C0060400 00000000
	s_load_dword s52, s[0:1], 0x110                            // 000000002A6C: C0020D00 00000110
	s_load_dword s54, s[0:1], 0x120                            // 000000002A74: C0020D80 00000120
	s_load_dwordx2 s[36:37], s[0:1], 0x130                     // 000000002A7C: C0060900 00000130
	s_load_dword s61, s[0:1], 0x140                            // 000000002A84: C0020F40 00000140
	s_load_dwordx2 s[40:41], s[0:1], 0x150                     // 000000002A8C: C0060A00 00000150
	v_lshrrev_b32_e32 v1, 10, v0                               // 000000002A94: 2002008A
	v_lshrrev_b32_e32 v2, 10, v1                               // 000000002A98: 2004028A
	v_and_b32_e32 v2, 0x3ff, v2                                // 000000002A9C: 260404FF 000003FF
	v_and_b32_e32 v1, 0x3ff, v1                                // 000000002AA4: 260202FF 000003FF
	v_and_b32_e32 v0, 0x3ff, v0                                // 000000002AAC: 260000FF 000003FF
	v_lshrrev_b32_e32 v3, 6, v0                                // 000000002AB4: 20060086
	v_and_b32_e32 v0, 63, v0                                   // 000000002AB8: 260000BF
	s_mov_b32 s22, s2                                          // 000000002ABC: BE960002
	s_mov_b32 s23, s3                                          // 000000002AC0: BE970003
	v_readfirstlane_b32 s24, v3                                // 000000002AC4: 7E300503
	s_waitcnt lgkmcnt(0)                                       // 000000002AC8: BF8CC07F
	s_mov_b32 s18, -16                                         // 000000002ACC: BE9200D0
	s_mov_b32 s14, -16                                         // 000000002AD0: BE8E00D0
	s_mov_b32 s10, -16                                         // 000000002AD4: BE8A00D0
	s_mov_b32 s6, -16                                          // 000000002AD8: BE8600D0
	s_mov_b32 s38, -16                                         // 000000002ADC: BEA600D0
	s_mov_b32 s19, 0x20000                                     // 000000002AE0: BE9300FF 00020000
	s_mov_b32 s15, 0x20000                                     // 000000002AE8: BE8F00FF 00020000
	s_mov_b32 s11, 0x20000                                     // 000000002AF0: BE8B00FF 00020000
	s_mov_b32 s7, 0x20000                                      // 000000002AF8: BE8700FF 00020000
	s_mov_b32 s39, 0x20000                                     // 000000002B00: BEA700FF 00020000
	s_and_b32 s17, s17, 0xffff                                 // 000000002B08: 8611FF11 0000FFFF
	s_and_b32 s13, s13, 0xffff                                 // 000000002B10: 860DFF0D 0000FFFF
	s_and_b32 s9, s9, 0xffff                                   // 000000002B18: 8609FF09 0000FFFF
	s_and_b32 s5, s5, 0xffff                                   // 000000002B20: 8605FF05 0000FFFF
	s_and_b32 s37, s37, 0xffff                                 // 000000002B28: 8625FF25 0000FFFF
	s_or_b32 s17, s17, 0x40000                                 // 000000002B30: 8711FF11 00040000
	s_or_b32 s13, s13, 0x40000                                 // 000000002B38: 870DFF0D 00040000
	s_or_b32 s9, s9, 0x40000                                   // 000000002B40: 8709FF09 00040000
	s_or_b32 s5, s5, 0x40000                                   // 000000002B48: 8705FF05 00040000
	s_or_b32 s37, s37, 0x40000                                 // 000000002B50: 8725FF25 00040000
	s_add_u32 s31, s26, 63                                     // 000000002B58: 801FBF1A
	s_lshr_b32 s31, s31, 6                                     // 000000002B5C: 8F1F861F
	s_mul_i32 s62, s23, s31                                    // 000000002B60: 923E1F17
	s_add_u32 s62, s62, s22                                    // 000000002B64: 803E163E
	s_lshl_b32 s62, s62, 2                                     // 000000002B68: 8E3E823E
	s_cmp_eq_u32 s53, 0                                        // 000000002B6C: BF068035
	s_cbranch_scc0 label_005F                                  // 000000002B70: BF840002
	s_load_dword s63, s[40:41], s62 glc                        // 000000002B74: C0010FD4 0000003E

0000000000002b7c <label_005F>:
	s_mov_b32 s35, 0x7060302                                   // 000000002B7C: BEA300FF 07060302
	v_mov_b32_e32 v9, 0xffff0000                               // 000000002B84: 7E1202FF FFFF0000
	v_mov_b32_e32 v10, 0x7fff0000                              // 000000002B8C: 7E1402FF 7FFF0000
	v_mov_b32_e32 v11, 0x7fff                                  // 000000002B94: 7E1602FF 00007FFF
	s_mul_i32 s31, s30, s25                                    // 000000002B9C: 921F191E
	s_mov_b32 s18, s31                                         // 000000002BA0: BE92001F
	s_cmp_lt_u32 s54, 1                                        // 000000002BA4: BF0A8136
	s_cbranch_scc0 label_008B                                  // 000000002BA8: BF840020
	v_and_b32_e64 v12, v0, 15                                  // 000000002BAC: D113000C 00011F00
	v_mul_lo_u32 v12, v12, s30                                 // 000000002BB4: D285000C 00003D0C
	v_lshrrev_b32_e32 v4, 4, v0                                // 000000002BBC: 20080084
	v_mul_i32_i24_e32 v4, 16, v4                               // 000000002BC0: 0C080890
	v_add_u32_e32 v12, v4, v12                                 // 000000002BC4: 68181904
	s_mul_i32 s31, s23, 0x60                                   // 000000002BC8: 921FFF17 00000060
	s_mul_i32 s31, s31, s30                                    // 000000002BD0: 921F1E1F
	v_add_u32_e32 v12, s31, v12                                // 000000002BD4: 6818181F
	s_mul_i32 s31, s22, 64                                     // 000000002BD8: 921FC016
	s_mul_i32 s31, s31, 4                                      // 000000002BDC: 921F841F
	v_add_u32_e32 v12, s31, v12                                // 000000002BE0: 6818181F
	s_mul_i32 s31, 64, s24                                     // 000000002BE4: 921F18C0
	v_add_u32_e32 v12, s31, v12                                // 000000002BE8: 6818181F
	s_mul_i32 s31, 16, s30                                     // 000000002BEC: 921F1E90
	v_add_u32_e32 v13, s31, v12                                // 000000002BF0: 681A181F
	v_add_u32_e32 v14, s31, v13                                // 000000002BF4: 681C1A1F
	v_add_u32_e32 v15, s31, v14                                // 000000002BF8: 681E1C1F
	v_add_u32_e32 v16, s31, v15                                // 000000002BFC: 68201E1F
	v_add_u32_e32 v17, s31, v16                                // 000000002C00: 6822201F
	s_mul_i32 s31, s23, 0x60                                   // 000000002C04: 921FFF17 00000060
	s_add_i32 s31, s31, s24                                    // 000000002C0C: 811F181F
	s_mul_i32 s31, s31, s30                                    // 000000002C10: 921F1E1F
	s_mul_i32 s32, s22, 64                                     // 000000002C14: 9220C016
	s_mul_i32 s32, s32, 4                                      // 000000002C18: 92208420
	s_add_i32 s31, s31, s32                                    // 000000002C1C: 811F201F
	v_lshlrev_b32_e32 v18, 2, v0                               // 000000002C20: 24240082
	v_add_u32_e32 v18, s31, v18                                // 000000002C24: 6824241F
	s_branch label_00B0                                        // 000000002C28: BF820025

0000000000002c2c <label_008B>:
	v_and_b32_e64 v12, v0, 15                                  // 000000002C2C: D113000C 00011F00
	v_mul_lo_u32 v12, v12, s30                                 // 000000002C34: D285000C 00003D0C
	v_lshrrev_b32_e32 v4, 4, v0                                // 000000002C3C: 20080084
	v_mul_i32_i24_e32 v4, 8, v4                                // 000000002C40: 0C080888
	v_add_u32_e32 v12, v4, v12                                 // 000000002C44: 68181904
	s_mul_i32 s31, s23, 0x60                                   // 000000002C48: 921FFF17 00000060
	s_mul_i32 s31, s31, s30                                    // 000000002C50: 921F1E1F
	v_add_u32_e32 v12, s31, v12                                // 000000002C54: 6818181F
	s_mul_i32 s31, s22, 64                                     // 000000002C58: 921FC016
	s_mul_i32 s31, s31, 2                                      // 000000002C5C: 921F821F
	v_add_u32_e32 v12, s31, v12                                // 000000002C60: 6818181F
	s_mul_i32 s31, 32, s24                                     // 000000002C64: 921F18A0
	v_add_u32_e32 v12, s31, v12                                // 000000002C68: 6818181F
	s_mul_i32 s31, 16, s30                                     // 000000002C6C: 921F1E90
	v_add_u32_e32 v13, s31, v12                                // 000000002C70: 681A181F
	v_add_u32_e32 v14, s31, v13                                // 000000002C74: 681C1A1F
	v_add_u32_e32 v15, s31, v14                                // 000000002C78: 681E1C1F
	v_add_u32_e32 v16, s31, v15                                // 000000002C7C: 68201E1F
	v_add_u32_e32 v17, s31, v16                                // 000000002C80: 6822201F
	s_mul_i32 s31, s23, 0x60                                   // 000000002C84: 921FFF17 00000060
	s_add_i32 s31, s31, s24                                    // 000000002C8C: 811F181F
	s_mul_i32 s31, s31, s30                                    // 000000002C90: 921F1E1F
	s_mul_i32 s32, s22, 64                                     // 000000002C94: 9220C016
	s_mul_i32 s32, s32, 2                                      // 000000002C98: 92208220
	s_add_i32 s31, s31, s32                                    // 000000002C9C: 811F201F
	v_lshrrev_b32_e32 v4, 5, v0                                // 000000002CA0: 20080085
	s_mul_i32 s32, s30, 4                                      // 000000002CA4: 9220841E
	v_mul_lo_u32 v4, v4, s32                                   // 000000002CA8: D2850004 00004104
	v_and_b32_e32 v5, 31, v0                                   // 000000002CB0: 260A009F
	v_lshlrev_b32_e32 v5, 2, v5                                // 000000002CB4: 240A0A82
	v_add_u32_e32 v18, v4, v5                                  // 000000002CB8: 68240B04
	v_add_u32_e32 v18, s31, v18                                // 000000002CBC: 6824241F

0000000000002cc0 <label_00B0>:
	s_cmp_eq_u32 s53, 0                                        // 000000002CC0: BF068035
	s_cbranch_scc0 label_00D8                                  // 000000002CC4: BF840026
	s_mov_b32 s31, 0                                           // 000000002CC8: BE9F0080

0000000000002ccc <label_00B3>:
	s_waitcnt lgkmcnt(0)                                       // 000000002CCC: BF8CC07F
	s_cmp_eq_u32 s63, s31                                      // 000000002CD0: BF061F3F
	s_cbranch_scc1 label_00B9                                  // 000000002CD4: BF850003
	s_load_dword s63, s[40:41], s62 glc                        // 000000002CD8: C0010FD4 0000003E
	s_branch label_00B3                                        // 000000002CE0: BF82FFFA

0000000000002ce4 <label_00B9>:
	v_mov_b32_e32 v60, 0                                       // 000000002CE4: 7E780280
	v_mov_b32_e32 v61, 0                                       // 000000002CE8: 7E7A0280
	v_mov_b32_e32 v62, 0                                       // 000000002CEC: 7E7C0280
	v_mov_b32_e32 v63, 0                                       // 000000002CF0: 7E7E0280
	s_cmp_lt_u32 s54, 1                                        // 000000002CF4: BF0A8136
	s_cbranch_scc0 label_00CC                                  // 000000002CF8: BF84000D
	buffer_store_dwordx4 v[60:63], v12, s[16:19], 0 offen sc0 nt sc1// 000000002CFC: E07ED000 80043C0C
	buffer_store_dwordx4 v[60:63], v13, s[16:19], 0 offen sc0 nt sc1// 000000002D04: E07ED000 80043C0D
	buffer_store_dwordx4 v[60:63], v14, s[16:19], 0 offen sc0 nt sc1// 000000002D0C: E07ED000 80043C0E
	buffer_store_dwordx4 v[60:63], v15, s[16:19], 0 offen sc0 nt sc1// 000000002D14: E07ED000 80043C0F
	buffer_store_dwordx4 v[60:63], v16, s[16:19], 0 offen sc0 nt sc1// 000000002D1C: E07ED000 80043C10
	buffer_store_dwordx4 v[60:63], v17, s[16:19], 0 offen sc0 nt sc1// 000000002D24: E07ED000 80043C11
	s_branch label_00D8                                        // 000000002D2C: BF82000C

0000000000002d30 <label_00CC>:
	buffer_store_dwordx2 v[60:61], v12, s[16:19], 0 offen sc0 nt sc1// 000000002D30: E076D000 80043C0C
	buffer_store_dwordx2 v[60:61], v13, s[16:19], 0 offen sc0 nt sc1// 000000002D38: E076D000 80043C0D
	buffer_store_dwordx2 v[60:61], v14, s[16:19], 0 offen sc0 nt sc1// 000000002D40: E076D000 80043C0E
	buffer_store_dwordx2 v[60:61], v15, s[16:19], 0 offen sc0 nt sc1// 000000002D48: E076D000 80043C0F
	buffer_store_dwordx2 v[60:61], v16, s[16:19], 0 offen sc0 nt sc1// 000000002D50: E076D000 80043C10
	buffer_store_dwordx2 v[60:61], v17, s[16:19], 0 offen sc0 nt sc1// 000000002D58: E076D000 80043C11

0000000000002d60 <label_00D8>:
	s_mul_i32 s31, s28, s25                                    // 000000002D60: 921F191C
	s_mov_b32 s6, s31                                          // 000000002D64: BE86001F
	s_mov_b32 s44, 0x80                                        // 000000002D68: BEAC00FF 00000080
	v_lshrrev_b32_e32 v4, 5, v0                                // 000000002D70: 20080085
	v_lshlrev_b32_e32 v4, 2, v4                                // 000000002D74: 24080882
	v_mul_lo_u32 v19, v4, s28                                  // 000000002D78: D2850013 00003904
	v_and_b32_e32 v4, 31, v0                                   // 000000002D80: 2608009F
	v_lshlrev_b32_e32 v4, 2, v4                                // 000000002D84: 24080882
	v_add_u32_e32 v19, v19, v4                                 // 000000002D88: 68260913
	s_mul_i32 s31, 8, s28                                      // 000000002D8C: 921F1C88
	v_add_u32_e64 v20, v19, s31                                // 000000002D90: D1340014 00003F13
	v_add_u32_e64 v21, v20, s31                                // 000000002D98: D1340015 00003F14
	v_add_u32_e64 v22, v21, s31                                // 000000002DA0: D1340016 00003F15
	v_add_u32_e64 v23, v22, s31                                // 000000002DA8: D1340017 00003F16
	v_add_u32_e64 v24, v23, s31                                // 000000002DB0: D1340018 00003F17
	v_add_u32_e64 v25, v24, s31                                // 000000002DB8: D1340019 00003F18
	v_add_u32_e64 v26, v25, s31                                // 000000002DC0: D134001A 00003F19
	v_add_u32_e64 v27, v26, s31                                // 000000002DC8: D134001B 00003F1A
	v_add_u32_e64 v28, v27, s31                                // 000000002DD0: D134001C 00003F1B
	v_add_u32_e64 v29, v28, s31                                // 000000002DD8: D134001D 00003F1C
	v_add_u32_e64 v30, v29, s31                                // 000000002DE0: D134001E 00003F1D
	s_mul_i32 s31, s23, 0x60                                   // 000000002DE8: 921FFF17 00000060
	s_add_u32 s31, s31, s24                                    // 000000002DF0: 801F181F
	s_mul_i32 s32, s31, s28                                    // 000000002DF4: 92201C1F
	v_add_u32_e64 v19, v19, s32                                // 000000002DF8: D1340013 00004113
	v_add_u32_e64 v20, v20, s32                                // 000000002E00: D1340014 00004114
	v_add_u32_e64 v21, v21, s32                                // 000000002E08: D1340015 00004115
	v_add_u32_e64 v22, v22, s32                                // 000000002E10: D1340016 00004116
	v_add_u32_e64 v23, v23, s32                                // 000000002E18: D1340017 00004117
	v_add_u32_e64 v24, v24, s32                                // 000000002E20: D1340018 00004118
	v_add_u32_e64 v25, v25, s32                                // 000000002E28: D1340019 00004119
	v_add_u32_e64 v26, v26, s32                                // 000000002E30: D134001A 0000411A
	v_add_u32_e64 v27, v27, s32                                // 000000002E38: D134001B 0000411B
	v_add_u32_e64 v28, v28, s32                                // 000000002E40: D134001C 0000411C
	v_add_u32_e64 v29, v29, s32                                // 000000002E48: D134001D 0000411D
	v_add_u32_e64 v30, v30, s32                                // 000000002E50: D134001E 0000411E
	v_lshrrev_b32_e32 v4, 4, v0                                // 000000002E58: 20080084
	v_lshlrev_b32_e32 v5, 2, v4                                // 000000002E5C: 240A0882
	v_and_b32_e32 v4, 15, v0                                   // 000000002E60: 2608008F
	v_lshrrev_b32_e32 v6, 2, v4                                // 000000002E64: 200C0882
	v_lshlrev_b32_e32 v6, 5, v6                                // 000000002E68: 240C0C85
	v_add_u32_e32 v5, v6, v5                                   // 000000002E6C: 680A0B06
	v_and_b32_e32 v4, 3, v0                                    // 000000002E70: 26080083
	v_mul_u32_u24_e32 v6, 0x308, v4                            // 000000002E74: 100C08FF 00000308
	v_add_u32_e32 v5, v6, v5                                   // 000000002E7C: 680A0B06
	v_lshlrev_b32_e32 v31, 2, v5                               // 000000002E80: 243E0A82
	s_mul_i32 s31, s24, 0xc20                                  // 000000002E84: 921FFF18 00000C20
	s_add_u32 s46, 0, s31                                      // 000000002E8C: 802E1F80
	s_add_u32 s47, 0x3080, s46                                 // 000000002E90: 802F2EFF 00003080
	s_add_u32 s48, 0x3080, s47                                 // 000000002E98: 80302FFF 00003080
	s_mul_i32 s31, s29, s26                                    // 000000002EA0: 921F1A1D
	s_mov_b32 s10, s31                                         // 000000002EA4: BE8A001F
	s_mov_b32 s45, 0x800                                       // 000000002EA8: BEAD00FF 00000800
	v_lshlrev_b32_e32 v32, 4, v0                               // 000000002EB0: 24400084
	s_mov_b32 s31, 0x400                                       // 000000002EB4: BE9F00FF 00000400
	v_add_u32_e64 v33, v32, s31                                // 000000002EBC: D1340021 00003F20
	s_mul_i32 s31, s22, 64                                     // 000000002EC4: 921FC016
	s_mul_i32 s32, 16, s24                                     // 000000002EC8: 92201890
	s_add_u32 s31, s31, s32                                    // 000000002ECC: 801F201F
	s_mul_i32 s32, s31, s29                                    // 000000002ED0: 92201D1F
	v_add_u32_e64 v32, v32, s32                                // 000000002ED4: D1340020 00004120
	v_add_u32_e64 v33, v33, s32                                // 000000002EDC: D1340021 00004121
	s_cmp_le_u32 s52, 1                                        // 000000002EE4: BF0B8134
	s_cbranch_scc1 label_0181                                  // 000000002EE8: BF850046
	s_lshr_b32 s32, s27, 6                                     // 000000002EEC: 8F20861B
	v_cvt_f32_u32_e32 v4, s52                                  // 000000002EF0: 7E080C34
	s_sub_i32 s31, 0, s52                                      // 000000002EF4: 819F3480
	v_rcp_iflag_f32_e32 v4, v4                                 // 000000002EF8: 7E084704
	s_nop 0                                                    // 000000002EFC: BF800000
	v_mul_f32_e32 v4, 0x4f7ffffe, v4                           // 000000002F00: 0A0808FF 4F7FFFFE
	v_cvt_u32_f32_e32 v4, v4                                   // 000000002F08: 7E080F04
	v_mul_lo_u32 v5, s31, v4                                   // 000000002F0C: D2850005 0002081F
	v_mul_hi_u32 v5, v4, v5                                    // 000000002F14: D2860005 00020B04
	v_add_u32_e32 v4, v4, v5                                   // 000000002F1C: 68080B04
	v_mul_hi_u32 v4, s32, v4                                   // 000000002F20: D2860004 00020820
	v_mul_lo_u32 v5, v4, s52                                   // 000000002F28: D2850005 00006904
	v_sub_u32_e32 v7, s32, v5                                  // 000000002F30: 6A0E0A20
	v_add_u32_e32 v6, 1, v4                                    // 000000002F34: 680C0881
	v_cmp_le_u32_e32 vcc, s52, v7                              // 000000002F38: 7D960E34
	v_subrev_u32_e32 v5, s52, v7                               // 000000002F3C: 6C0A0E34
	s_nop 0                                                    // 000000002F40: BF800000
	v_cndmask_b32_e32 v4, v4, v6, vcc                          // 000000002F44: 00080D04
	v_cndmask_b32_e32 v7, v7, v5, vcc                          // 000000002F48: 000E0B07
	v_add_u32_e32 v5, 1, v4                                    // 000000002F4C: 680A0881
	v_cmp_le_u32_e32 vcc, s52, v7                              // 000000002F50: 7D960E34
	s_nop 1                                                    // 000000002F54: BF800001
	v_cndmask_b32_e32 v7, v4, v5, vcc                          // 000000002F58: 000E0B04
	s_nop 3                                                    // 000000002F5C: BF800003
	v_readfirstlane_b32 s32, v7                                // 000000002F60: 7E400507
	s_nop 3                                                    // 000000002F64: BF800003
	s_mul_i32 s32, s32, 64                                     // 000000002F68: 9220C020
	s_mul_i32 s31, s53, s32                                    // 000000002F6C: 921F2035
	s_sub_i32 s56, s27, s31                                    // 000000002F70: 81B81F1B
	s_sub_i32 s31, s52, 1                                      // 000000002F74: 819F8134
	s_cmp_eq_i32 s53, s31                                      // 000000002F78: BF001F35
	s_cselect_b32 s27, s56, s32                                // 000000002F7C: 851B2038
	s_mul_i32 s31, s32, 2                                      // 000000002F80: 921F8220
	s_mul_i32 s31, s31, s53                                    // 000000002F84: 921F351F
	v_add_u32_e64 v19, v19, s31                                // 000000002F88: D1340013 00003F13
	v_add_u32_e64 v20, v20, s31                                // 000000002F90: D1340014 00003F14
	v_add_u32_e64 v21, v21, s31                                // 000000002F98: D1340015 00003F15
	v_add_u32_e64 v22, v22, s31                                // 000000002FA0: D1340016 00003F16
	v_add_u32_e64 v23, v23, s31                                // 000000002FA8: D1340017 00003F17
	v_add_u32_e64 v24, v24, s31                                // 000000002FB0: D1340018 00003F18
	v_add_u32_e64 v25, v25, s31                                // 000000002FB8: D1340019 00003F19
	v_add_u32_e64 v26, v26, s31                                // 000000002FC0: D134001A 00003F1A
	v_add_u32_e64 v27, v27, s31                                // 000000002FC8: D134001B 00003F1B
	v_add_u32_e64 v28, v28, s31                                // 000000002FD0: D134001C 00003F1C
	v_add_u32_e64 v29, v29, s31                                // 000000002FD8: D134001D 00003F1D
	v_add_u32_e64 v30, v30, s31                                // 000000002FE0: D134001E 00003F1E
	s_mul_i32 s31, s32, 2                                      // 000000002FE8: 921F8220
	s_mul_i32 s31, s31, s53                                    // 000000002FEC: 921F351F
	s_mul_i32 s31, s31, 16                                     // 000000002FF0: 921F901F
	v_add_u32_e64 v32, v32, s31                                // 000000002FF4: D1340020 00003F20
	v_add_u32_e64 v33, v33, s31                                // 000000002FFC: D1340021 00003F21

0000000000003004 <label_0181>:
	s_cmp_eq_u32 s61, 1                                        // 000000003004: BF06813D
	s_cbranch_scc0 label_01BC                                  // 000000003008: BF840039
	s_cmp_eq_i32 s53, 0                                        // 00000000300C: BF008035
	s_cbranch_scc0 label_01BC                                  // 000000003010: BF840037
	s_mul_i32 s31, 2, s26                                      // 000000003014: 921F1A82
	s_mov_b32 s38, s31                                         // 000000003018: BEA6001F
	v_lshrrev_b32_e32 v4, 4, v0                                // 00000000301C: 20080084
	v_mul_i32_i24_e32 v72, 8, v4                               // 000000003020: 0C900888
	s_mul_i32 s31, 32, s24                                     // 000000003024: 921F18A0
	v_add_u32_e32 v72, s31, v72                                // 000000003028: 6890901F
	s_mul_i32 s32, s22, 64                                     // 00000000302C: 9220C016
	s_mul_i32 s32, s32, 2                                      // 000000003030: 92208220
	v_add_u32_e32 v72, s32, v72                                // 000000003034: 68909020
	v_mov_b32_e32 v74, 0                                       // 000000003038: 7E940280
	v_mov_b32_e32 v75, 0                                       // 00000000303C: 7E960280
	buffer_load_dwordx2 v[74:75], v72, s[36:39], 0 offen       // 000000003040: E0541000 80094A48
	s_waitcnt vmcnt(0)                                         // 000000003048: BF8C0F70
	v_mov_b32_e32 v4, 0xffff0000                               // 00000000304C: 7E0802FF FFFF0000
	v_and_b32_e32 v4, v74, v4                                  // 000000003054: 2608094A
	v_mov_b32_e32 v5, 0xffff                                   // 000000003058: 7E0A02FF 0000FFFF
	v_and_b32_e32 v5, v74, v5                                  // 000000003060: 260A0B4A
	v_mov_b32_e32 v77, v4                                      // 000000003064: 7E9A0304
	v_lshlrev_b32_e32 v76, 16, v5                              // 000000003068: 24980A90
	v_mov_b32_e32 v4, 0xffff0000                               // 00000000306C: 7E0802FF FFFF0000
	v_and_b32_e32 v4, v75, v4                                  // 000000003074: 2608094B
	v_mov_b32_e32 v5, 0xffff                                   // 000000003078: 7E0A02FF 0000FFFF
	v_and_b32_e32 v5, v75, v5                                  // 000000003080: 260A0B4B
	v_mov_b32_e32 v79, v4                                      // 000000003084: 7E9E0304
	v_lshlrev_b32_e32 v78, 16, v5                              // 000000003088: 249C0A90
	v_mov_b32_e32 v36, v76                                     // 00000000308C: 7E48034C
	v_mov_b32_e32 v37, v77                                     // 000000003090: 7E4A034D
	v_mov_b32_e32 v38, v78                                     // 000000003094: 7E4C034E
	v_mov_b32_e32 v39, v79                                     // 000000003098: 7E4E034F
	v_mov_b32_e32 v40, v76                                     // 00000000309C: 7E50034C
	v_mov_b32_e32 v41, v77                                     // 0000000030A0: 7E52034D
	v_mov_b32_e32 v42, v78                                     // 0000000030A4: 7E54034E
	v_mov_b32_e32 v43, v79                                     // 0000000030A8: 7E56034F
	v_mov_b32_e32 v44, v76                                     // 0000000030AC: 7E58034C
	v_mov_b32_e32 v45, v77                                     // 0000000030B0: 7E5A034D
	v_mov_b32_e32 v46, v78                                     // 0000000030B4: 7E5C034E
	v_mov_b32_e32 v47, v79                                     // 0000000030B8: 7E5E034F
	v_mov_b32_e32 v48, v76                                     // 0000000030BC: 7E60034C
	v_mov_b32_e32 v49, v77                                     // 0000000030C0: 7E62034D
	v_mov_b32_e32 v50, v78                                     // 0000000030C4: 7E64034E
	v_mov_b32_e32 v51, v79                                     // 0000000030C8: 7E66034F
	v_mov_b32_e32 v52, v76                                     // 0000000030CC: 7E68034C
	v_mov_b32_e32 v53, v77                                     // 0000000030D0: 7E6A034D
	v_mov_b32_e32 v54, v78                                     // 0000000030D4: 7E6C034E
	v_mov_b32_e32 v55, v79                                     // 0000000030D8: 7E6E034F
	v_mov_b32_e32 v56, v76                                     // 0000000030DC: 7E70034C
	v_mov_b32_e32 v57, v77                                     // 0000000030E0: 7E72034D
	v_mov_b32_e32 v58, v78                                     // 0000000030E4: 7E74034E
	v_mov_b32_e32 v59, v79                                     // 0000000030E8: 7E76034F
	s_branch label_01D4                                        // 0000000030EC: BF820018

00000000000030f0 <label_01BC>:
	v_mov_b32_e32 v36, 0                                       // 0000000030F0: 7E480280
	v_mov_b32_e32 v37, 0                                       // 0000000030F4: 7E4A0280
	v_mov_b32_e32 v38, 0                                       // 0000000030F8: 7E4C0280
	v_mov_b32_e32 v39, 0                                       // 0000000030FC: 7E4E0280
	v_mov_b32_e32 v40, 0                                       // 000000003100: 7E500280
	v_mov_b32_e32 v41, 0                                       // 000000003104: 7E520280
	v_mov_b32_e32 v42, 0                                       // 000000003108: 7E540280
	v_mov_b32_e32 v43, 0                                       // 00000000310C: 7E560280
	v_mov_b32_e32 v44, 0                                       // 000000003110: 7E580280
	v_mov_b32_e32 v45, 0                                       // 000000003114: 7E5A0280
	v_mov_b32_e32 v46, 0                                       // 000000003118: 7E5C0280
	v_mov_b32_e32 v47, 0                                       // 00000000311C: 7E5E0280
	v_mov_b32_e32 v48, 0                                       // 000000003120: 7E600280
	v_mov_b32_e32 v49, 0                                       // 000000003124: 7E620280
	v_mov_b32_e32 v50, 0                                       // 000000003128: 7E640280
	v_mov_b32_e32 v51, 0                                       // 00000000312C: 7E660280
	v_mov_b32_e32 v52, 0                                       // 000000003130: 7E680280
	v_mov_b32_e32 v53, 0                                       // 000000003134: 7E6A0280
	v_mov_b32_e32 v54, 0                                       // 000000003138: 7E6C0280
	v_mov_b32_e32 v55, 0                                       // 00000000313C: 7E6E0280
	v_mov_b32_e32 v56, 0                                       // 000000003140: 7E700280
	v_mov_b32_e32 v57, 0                                       // 000000003144: 7E720280
	v_mov_b32_e32 v58, 0                                       // 000000003148: 7E740280
	v_mov_b32_e32 v59, 0                                       // 00000000314C: 7E760280

0000000000003150 <label_01D4>:
	s_add_u32 m0, 0, s46                                       // 000000003150: 807C2E80
	buffer_load_dword v19, s[4:7], 0 offen lds                 // 000000003154: E0511000 80010013
	s_add_u32 m0, 0x100, s46                                   // 00000000315C: 807C2EFF 00000100
	buffer_load_dword v20, s[4:7], 0 offen lds                 // 000000003164: E0511000 80010014
	s_add_u32 m0, 0x200, s46                                   // 00000000316C: 807C2EFF 00000200
	buffer_load_dword v21, s[4:7], 0 offen lds                 // 000000003174: E0511000 80010015
	s_add_u32 m0, 0x300, s46                                   // 00000000317C: 807C2EFF 00000300
	buffer_load_dword v22, s[4:7], 0 offen lds                 // 000000003184: E0511000 80010016
	s_add_u32 m0, 0x400, s46                                   // 00000000318C: 807C2EFF 00000400
	buffer_load_dword v23, s[4:7], 0 offen lds                 // 000000003194: E0511000 80010017
	s_add_u32 m0, 0x500, s46                                   // 00000000319C: 807C2EFF 00000500
	buffer_load_dword v24, s[4:7], 0 offen lds                 // 0000000031A4: E0511000 80010018
	s_add_u32 m0, 0x600, s46                                   // 0000000031AC: 807C2EFF 00000600
	buffer_load_dword v25, s[4:7], 0 offen lds                 // 0000000031B4: E0511000 80010019
	s_add_u32 m0, 0x700, s46                                   // 0000000031BC: 807C2EFF 00000700
	buffer_load_dword v26, s[4:7], 0 offen lds                 // 0000000031C4: E0511000 8001001A
	s_add_u32 m0, 0x800, s46                                   // 0000000031CC: 807C2EFF 00000800
	buffer_load_dword v27, s[4:7], 0 offen lds                 // 0000000031D4: E0511000 8001001B
	s_add_u32 m0, 0x900, s46                                   // 0000000031DC: 807C2EFF 00000900
	buffer_load_dword v28, s[4:7], 0 offen lds                 // 0000000031E4: E0511000 8001001C
	s_add_u32 m0, 0xa00, s46                                   // 0000000031EC: 807C2EFF 00000A00
	buffer_load_dword v29, s[4:7], 0 offen lds                 // 0000000031F4: E0511000 8001001D
	s_add_u32 m0, 0xb00, s46                                   // 0000000031FC: 807C2EFF 00000B00
	buffer_load_dword v30, s[4:7], 0 offen lds                 // 000000003204: E0511000 8001001E
	s_add_u32 s4, s44, s4                                      // 00000000320C: 8004042C
	s_addc_u32 s5, 0, s5                                       // 000000003210: 82050580
	s_sub_u32 s6, s6, s44                                      // 000000003214: 80862C06
	buffer_load_dwordx4 a[96:99], v32, s[8:11], 0 offen        // 000000003218: E05C1000 80826020
	buffer_load_dwordx4 a[100:103], v33, s[8:11], 0 offen      // 000000003220: E05C1000 80826421
	s_add_u32 s8, s45, s8                                      // 000000003228: 8008082D
	s_addc_u32 s9, 0, s9                                       // 00000000322C: 82090980
	s_sub_u32 s10, s10, s45                                    // 000000003230: 808A2D0A
	s_add_u32 m0, 0, s47                                       // 000000003234: 807C2F80
	buffer_load_dword v19, s[4:7], 0 offen lds                 // 000000003238: E0511000 80010013
	s_add_u32 m0, 0x100, s47                                   // 000000003240: 807C2FFF 00000100
	buffer_load_dword v20, s[4:7], 0 offen lds                 // 000000003248: E0511000 80010014
	s_add_u32 m0, 0x200, s47                                   // 000000003250: 807C2FFF 00000200
	;; [unrolled: 2-line block ×6, first 2 shown]
	buffer_load_dword v25, s[4:7], 0 offen lds                 // 000000003298: E0511000 80010019
	s_add_u32 m0, 0x700, s47                                   // 0000000032A0: 807C2FFF 00000700
	buffer_load_dword v26, s[4:7], 0 offen lds                 // 0000000032A8: E0511000 8001001A
	s_add_u32 m0, 0x800, s47                                   // 0000000032B0: 807C2FFF 00000800
	buffer_load_dword v27, s[4:7], 0 offen lds                 // 0000000032B8: E0511000 8001001B
	s_add_u32 m0, 0x900, s47                                   // 0000000032C0: 807C2FFF 00000900
	buffer_load_dword v28, s[4:7], 0 offen lds                 // 0000000032C8: E0511000 8001001C
	s_add_u32 m0, 0xa00, s47                                   // 0000000032D0: 807C2FFF 00000A00
	buffer_load_dword v29, s[4:7], 0 offen lds                 // 0000000032D8: E0511000 8001001D
	s_add_u32 m0, 0xb00, s47                                   // 0000000032E0: 807C2FFF 00000B00
	buffer_load_dword v30, s[4:7], 0 offen lds                 // 0000000032E8: E0511000 8001001E
	s_add_u32 s4, s44, s4                                      // 0000000032F0: 8004042C
	s_addc_u32 s5, 0, s5                                       // 0000000032F4: 82050580
	s_sub_u32 s6, s6, s44                                      // 0000000032F8: 80862C06
	buffer_load_dwordx4 a[104:107], v32, s[8:11], 0 offen      // 0000000032FC: E05C1000 80826820
	buffer_load_dwordx4 a[108:111], v33, s[8:11], 0 offen      // 000000003304: E05C1000 80826C21
	s_add_u32 s8, s45, s8                                      // 00000000330C: 8008082D
	s_addc_u32 s9, 0, s9                                       // 000000003310: 82090980
	s_sub_u32 s10, s10, s45                                    // 000000003314: 808A2D0A
	s_add_u32 m0, 0, s48                                       // 000000003318: 807C3080
	buffer_load_dword v19, s[4:7], 0 offen lds                 // 00000000331C: E0511000 80010013
	s_add_u32 m0, 0x100, s48                                   // 000000003324: 807C30FF 00000100
	buffer_load_dword v20, s[4:7], 0 offen lds                 // 00000000332C: E0511000 80010014
	s_add_u32 m0, 0x200, s48                                   // 000000003334: 807C30FF 00000200
	buffer_load_dword v21, s[4:7], 0 offen lds                 // 00000000333C: E0511000 80010015
	s_add_u32 m0, 0x300, s48                                   // 000000003344: 807C30FF 00000300
	buffer_load_dword v22, s[4:7], 0 offen lds                 // 00000000334C: E0511000 80010016
	s_add_u32 m0, 0x400, s48                                   // 000000003354: 807C30FF 00000400
	buffer_load_dword v23, s[4:7], 0 offen lds                 // 00000000335C: E0511000 80010017
	s_add_u32 m0, 0x500, s48                                   // 000000003364: 807C30FF 00000500
	buffer_load_dword v24, s[4:7], 0 offen lds                 // 00000000336C: E0511000 80010018
	s_add_u32 m0, 0x600, s48                                   // 000000003374: 807C30FF 00000600
	buffer_load_dword v25, s[4:7], 0 offen lds                 // 00000000337C: E0511000 80010019
	s_add_u32 m0, 0x700, s48                                   // 000000003384: 807C30FF 00000700
	buffer_load_dword v26, s[4:7], 0 offen lds                 // 00000000338C: E0511000 8001001A
	s_add_u32 m0, 0x800, s48                                   // 000000003394: 807C30FF 00000800
	buffer_load_dword v27, s[4:7], 0 offen lds                 // 00000000339C: E0511000 8001001B
	s_add_u32 m0, 0x900, s48                                   // 0000000033A4: 807C30FF 00000900
	buffer_load_dword v28, s[4:7], 0 offen lds                 // 0000000033AC: E0511000 8001001C
	s_add_u32 m0, 0xa00, s48                                   // 0000000033B4: 807C30FF 00000A00
	buffer_load_dword v29, s[4:7], 0 offen lds                 // 0000000033BC: E0511000 8001001D
	s_add_u32 m0, 0xb00, s48                                   // 0000000033C4: 807C30FF 00000B00
	buffer_load_dword v30, s[4:7], 0 offen lds                 // 0000000033CC: E0511000 8001001E
	s_add_u32 s4, s44, s4                                      // 0000000033D4: 8004042C
	s_addc_u32 s5, 0, s5                                       // 0000000033D8: 82050580
	s_sub_u32 s6, s6, s44                                      // 0000000033DC: 80862C06
	s_mov_b32 s34, s27                                         // 0000000033E0: BEA2001B
	s_mov_b32 s33, 0                                           // 0000000033E4: BEA10080
	s_mul_i32 s31, s23, 0x60                                   // 0000000033E8: 921FFF17 00000060
	s_sub_i32 s55, s25, s31                                    // 0000000033F0: 81B71F19
	s_waitcnt vmcnt(28)                                        // 0000000033F4: BF8C4F7C
	s_barrier                                                  // 0000000033F8: BF8A0000
	s_or_b32 s31, s53, s24                                     // 0000000033FC: 871F1835
	s_cmp_eq_u32 s31, 0                                        // 000000003400: BF06801F
	s_cbranch_scc0 label_0284                                  // 000000003404: BF840002
	s_store_dword s52, s[40:41], s62 glc                       // 000000003408: C0410D14 0000003E

0000000000003410 <label_0284>:
	ds_read_b128 a[0:3], v31                                   // 000000003410: DBFE0000 0000001F
	ds_read_b128 a[4:7], v31 offset:64                         // 000000003418: DBFE0040 0400001F
	ds_read_b128 a[8:11], v31 offset:512                       // 000000003420: DBFE0200 0800001F
	ds_read_b128 a[12:15], v31 offset:576                      // 000000003428: DBFE0240 0C00001F
	ds_read_b128 a[16:19], v31 offset:1024                     // 000000003430: DBFE0400 1000001F
	ds_read_b128 a[20:23], v31 offset:1088                     // 000000003438: DBFE0440 1400001F
	ds_read_b128 a[24:27], v31 offset:1536                     // 000000003440: DBFE0600 1800001F
	ds_read_b128 a[28:31], v31 offset:1600                     // 000000003448: DBFE0640 1C00001F
	ds_read_b128 a[32:35], v31 offset:2048                     // 000000003450: DBFE0800 2000001F
	ds_read_b128 a[36:39], v31 offset:2112                     // 000000003458: DBFE0840 2400001F
	ds_read_b128 a[40:43], v31 offset:2560                     // 000000003460: DBFE0A00 2800001F
	ds_read_b128 a[44:47], v31 offset:2624                     // 000000003468: DBFE0A40 2C00001F
	s_cmp_lt_i32 s24, 2                                        // 000000003470: BF048218
	s_cbranch_scc0 label_05E7                                  // 000000003474: BF840349

0000000000003478 <label_029E>:
	s_waitcnt vmcnt(14) lgkmcnt(0)                             // 000000003478: BF8C007E
	s_barrier                                                  // 00000000347C: BF8A0000
	v_mfma_f32_16x16x16_bf16 v[36:39], a[96:97], a[0:1], v[36:39]// 000000003480: D3E10024 1C920160
	s_add_u32 m0, 0, s46                                       // 000000003488: 807C2E80
	buffer_load_dword v19, s[4:7], 0 offen lds                 // 00000000348C: E0511000 80010013
	v_mfma_f32_16x16x16_bf16 v[36:39], a[98:99], a[2:3], v[36:39]// 000000003494: D3E10024 1C920562
	s_add_u32 m0, 0x100, s46                                   // 00000000349C: 807C2EFF 00000100
	buffer_load_dword v20, s[4:7], 0 offen lds                 // 0000000034A4: E0511000 80010014
	ds_read_b128 a[48:51], v31 offset:12416                    // 0000000034AC: DBFE3080 3000001F
	ds_read_b128 a[52:55], v31 offset:12480                    // 0000000034B4: DBFE30C0 3400001F
	v_mfma_f32_16x16x16_bf16 v[36:39], a[100:101], a[4:5], v[36:39]// 0000000034BC: D3E10024 1C920964
	s_add_u32 m0, 0x200, s46                                   // 0000000034C4: 807C2EFF 00000200
	buffer_load_dword v21, s[4:7], 0 offen lds                 // 0000000034CC: E0511000 80010015
	v_mfma_f32_16x16x16_bf16 v[36:39], a[102:103], a[6:7], v[36:39]// 0000000034D4: D3E10024 1C920D66
	s_add_u32 m0, 0x300, s46                                   // 0000000034DC: 807C2EFF 00000300
	buffer_load_dword v22, s[4:7], 0 offen lds                 // 0000000034E4: E0511000 80010016
	ds_read_b128 a[56:59], v31 offset:12928                    // 0000000034EC: DBFE3280 3800001F
	ds_read_b128 a[60:63], v31 offset:12992                    // 0000000034F4: DBFE32C0 3C00001F
	v_mfma_f32_16x16x16_bf16 v[40:43], a[96:97], a[8:9], v[40:43]// 0000000034FC: D3E10028 1CA21160
	s_add_u32 m0, 0x400, s46                                   // 000000003504: 807C2EFF 00000400
	buffer_load_dword v23, s[4:7], 0 offen lds                 // 00000000350C: E0511000 80010017
	v_mfma_f32_16x16x16_bf16 v[40:43], a[98:99], a[10:11], v[40:43]// 000000003514: D3E10028 1CA21562
	s_add_u32 m0, 0x500, s46                                   // 00000000351C: 807C2EFF 00000500
	buffer_load_dword v24, s[4:7], 0 offen lds                 // 000000003524: E0511000 80010018
	ds_read_b128 a[64:67], v31 offset:13440                    // 00000000352C: DBFE3480 4000001F
	ds_read_b128 a[68:71], v31 offset:13504                    // 000000003534: DBFE34C0 4400001F
	v_mfma_f32_16x16x16_bf16 v[40:43], a[100:101], a[12:13], v[40:43]// 00000000353C: D3E10028 1CA21964
	s_add_u32 m0, 0x600, s46                                   // 000000003544: 807C2EFF 00000600
	buffer_load_dword v25, s[4:7], 0 offen lds                 // 00000000354C: E0511000 80010019
	v_mfma_f32_16x16x16_bf16 v[40:43], a[102:103], a[14:15], v[40:43]// 000000003554: D3E10028 1CA21D66
	s_add_u32 m0, 0x700, s46                                   // 00000000355C: 807C2EFF 00000700
	buffer_load_dword v26, s[4:7], 0 offen lds                 // 000000003564: E0511000 8001001A
	ds_read_b128 a[72:75], v31 offset:13952                    // 00000000356C: DBFE3680 4800001F
	ds_read_b128 a[76:79], v31 offset:14016                    // 000000003574: DBFE36C0 4C00001F
	v_mfma_f32_16x16x16_bf16 v[44:47], a[96:97], a[16:17], v[44:47]// 00000000357C: D3E1002C 1CB22160
	s_add_u32 m0, 0x800, s46                                   // 000000003584: 807C2EFF 00000800
	buffer_load_dword v27, s[4:7], 0 offen lds                 // 00000000358C: E0511000 8001001B
	v_mfma_f32_16x16x16_bf16 v[44:47], a[98:99], a[18:19], v[44:47]// 000000003594: D3E1002C 1CB22562
	s_add_u32 m0, 0x900, s46                                   // 00000000359C: 807C2EFF 00000900
	buffer_load_dword v28, s[4:7], 0 offen lds                 // 0000000035A4: E0511000 8001001C
	ds_read_b128 a[80:83], v31 offset:14464                    // 0000000035AC: DBFE3880 5000001F
	ds_read_b128 a[84:87], v31 offset:14528                    // 0000000035B4: DBFE38C0 5400001F
	v_mfma_f32_16x16x16_bf16 v[44:47], a[100:101], a[20:21], v[44:47]// 0000000035BC: D3E1002C 1CB22964
	s_add_u32 m0, 0xa00, s46                                   // 0000000035C4: 807C2EFF 00000A00
	buffer_load_dword v29, s[4:7], 0 offen lds                 // 0000000035CC: E0511000 8001001D
	v_mfma_f32_16x16x16_bf16 v[44:47], a[102:103], a[22:23], v[44:47]// 0000000035D4: D3E1002C 1CB22D66
	s_add_u32 m0, 0xb00, s46                                   // 0000000035DC: 807C2EFF 00000B00
	buffer_load_dword v30, s[4:7], 0 offen lds                 // 0000000035E4: E0511000 8001001E
	ds_read_b128 a[88:91], v31 offset:14976                    // 0000000035EC: DBFE3A80 5800001F
	ds_read_b128 a[92:95], v31 offset:15040                    // 0000000035F4: DBFE3AC0 5C00001F
	v_mfma_f32_16x16x16_bf16 v[48:51], a[96:97], a[24:25], v[48:51]// 0000000035FC: D3E10030 1CC23160
	s_add_u32 s31, 0x100, s33                                  // 000000003604: 801F21FF 00000100
	s_cmp_lt_u32 s31, s34                                      // 00000000360C: BF0A221F
	s_cselect_b32 s44, s44, 0                                  // 000000003610: 852C802C
	buffer_load_dwordx4 a[112:115], v32, s[8:11], 0 offen      // 000000003614: E05C1000 80827020
	v_mfma_f32_16x16x16_bf16 v[48:51], a[98:99], a[26:27], v[48:51]// 00000000361C: D3E10030 1CC23562
	buffer_load_dwordx4 a[116:119], v33, s[8:11], 0 offen      // 000000003624: E05C1000 80827421
	s_add_u32 s4, s44, s4                                      // 00000000362C: 8004042C
	s_addc_u32 s5, 0, s5                                       // 000000003630: 82050580
	v_mfma_f32_16x16x16_bf16 v[48:51], a[100:101], a[28:29], v[48:51]// 000000003634: D3E10030 1CC23964
	s_add_u32 s31, 0xc0, s33                                   // 00000000363C: 801F21FF 000000C0
	s_cmp_lt_u32 s31, s34                                      // 000000003644: BF0A221F
	s_cselect_b32 s45, s45, 0                                  // 000000003648: 852D802D
	v_mfma_f32_16x16x16_bf16 v[48:51], a[102:103], a[30:31], v[48:51]// 00000000364C: D3E10030 1CC23D66
	s_add_u32 s8, s45, s8                                      // 000000003654: 8008082D
	s_addc_u32 s9, 0, s9                                       // 000000003658: 82090980
	v_mfma_f32_16x16x16_bf16 v[52:55], a[96:97], a[32:33], v[52:55]// 00000000365C: D3E10034 1CD24160
	v_mfma_f32_16x16x16_bf16 v[52:55], a[98:99], a[34:35], v[52:55]// 000000003664: D3E10034 1CD24562
	v_mfma_f32_16x16x16_bf16 v[52:55], a[100:101], a[36:37], v[52:55]// 00000000366C: D3E10034 1CD24964
	v_mfma_f32_16x16x16_bf16 v[52:55], a[102:103], a[38:39], v[52:55]// 000000003674: D3E10034 1CD24D66
	v_mfma_f32_16x16x16_bf16 v[56:59], a[96:97], a[40:41], v[56:59]// 00000000367C: D3E10038 1CE25160
	v_mfma_f32_16x16x16_bf16 v[56:59], a[98:99], a[42:43], v[56:59]// 000000003684: D3E10038 1CE25562
	v_mfma_f32_16x16x16_bf16 v[56:59], a[100:101], a[44:45], v[56:59]// 00000000368C: D3E10038 1CE25964
	v_mfma_f32_16x16x16_bf16 v[56:59], a[102:103], a[46:47], v[56:59]// 000000003694: D3E10038 1CE25D66
	s_addk_i32 s33, 0x40                                       // 00000000369C: B7210040
	s_cmp_lt_i32 s33, s34                                      // 0000000036A0: BF042221
	s_cbranch_scc0 label_0930                                  // 0000000036A4: BF840606
	s_waitcnt vmcnt(14) lgkmcnt(0)                             // 0000000036A8: BF8C007E
	s_barrier                                                  // 0000000036AC: BF8A0000
	v_mfma_f32_16x16x16_bf16 v[36:39], a[104:105], a[48:49], v[36:39]// 0000000036B0: D3E10024 1C926168
	s_add_u32 m0, 0, s47                                       // 0000000036B8: 807C2F80
	buffer_load_dword v19, s[4:7], 0 offen lds                 // 0000000036BC: E0511000 80010013
	v_mfma_f32_16x16x16_bf16 v[36:39], a[106:107], a[50:51], v[36:39]// 0000000036C4: D3E10024 1C92656A
	s_add_u32 m0, 0x100, s47                                   // 0000000036CC: 807C2FFF 00000100
	buffer_load_dword v20, s[4:7], 0 offen lds                 // 0000000036D4: E0511000 80010014
	ds_read_b128 a[0:3], v31 offset:24832                      // 0000000036DC: DBFE6100 0000001F
	ds_read_b128 a[4:7], v31 offset:24896                      // 0000000036E4: DBFE6140 0400001F
	v_mfma_f32_16x16x16_bf16 v[36:39], a[108:109], a[52:53], v[36:39]// 0000000036EC: D3E10024 1C92696C
	s_add_u32 m0, 0x200, s47                                   // 0000000036F4: 807C2FFF 00000200
	buffer_load_dword v21, s[4:7], 0 offen lds                 // 0000000036FC: E0511000 80010015
	v_mfma_f32_16x16x16_bf16 v[36:39], a[110:111], a[54:55], v[36:39]// 000000003704: D3E10024 1C926D6E
	s_add_u32 m0, 0x300, s47                                   // 00000000370C: 807C2FFF 00000300
	buffer_load_dword v22, s[4:7], 0 offen lds                 // 000000003714: E0511000 80010016
	ds_read_b128 a[8:11], v31 offset:25344                     // 00000000371C: DBFE6300 0800001F
	ds_read_b128 a[12:15], v31 offset:25408                    // 000000003724: DBFE6340 0C00001F
	v_mfma_f32_16x16x16_bf16 v[40:43], a[104:105], a[56:57], v[40:43]// 00000000372C: D3E10028 1CA27168
	s_add_u32 m0, 0x400, s47                                   // 000000003734: 807C2FFF 00000400
	buffer_load_dword v23, s[4:7], 0 offen lds                 // 00000000373C: E0511000 80010017
	v_mfma_f32_16x16x16_bf16 v[40:43], a[106:107], a[58:59], v[40:43]// 000000003744: D3E10028 1CA2756A
	s_add_u32 m0, 0x500, s47                                   // 00000000374C: 807C2FFF 00000500
	buffer_load_dword v24, s[4:7], 0 offen lds                 // 000000003754: E0511000 80010018
	ds_read_b128 a[16:19], v31 offset:25856                    // 00000000375C: DBFE6500 1000001F
	ds_read_b128 a[20:23], v31 offset:25920                    // 000000003764: DBFE6540 1400001F
	v_mfma_f32_16x16x16_bf16 v[40:43], a[108:109], a[60:61], v[40:43]// 00000000376C: D3E10028 1CA2796C
	s_add_u32 m0, 0x600, s47                                   // 000000003774: 807C2FFF 00000600
	buffer_load_dword v25, s[4:7], 0 offen lds                 // 00000000377C: E0511000 80010019
	v_mfma_f32_16x16x16_bf16 v[40:43], a[110:111], a[62:63], v[40:43]// 000000003784: D3E10028 1CA27D6E
	s_add_u32 m0, 0x700, s47                                   // 00000000378C: 807C2FFF 00000700
	buffer_load_dword v26, s[4:7], 0 offen lds                 // 000000003794: E0511000 8001001A
	ds_read_b128 a[24:27], v31 offset:26368                    // 00000000379C: DBFE6700 1800001F
	ds_read_b128 a[28:31], v31 offset:26432                    // 0000000037A4: DBFE6740 1C00001F
	v_mfma_f32_16x16x16_bf16 v[44:47], a[104:105], a[64:65], v[44:47]// 0000000037AC: D3E1002C 1CB28168
	s_add_u32 m0, 0x800, s47                                   // 0000000037B4: 807C2FFF 00000800
	buffer_load_dword v27, s[4:7], 0 offen lds                 // 0000000037BC: E0511000 8001001B
	v_mfma_f32_16x16x16_bf16 v[44:47], a[106:107], a[66:67], v[44:47]// 0000000037C4: D3E1002C 1CB2856A
	s_add_u32 m0, 0x900, s47                                   // 0000000037CC: 807C2FFF 00000900
	buffer_load_dword v28, s[4:7], 0 offen lds                 // 0000000037D4: E0511000 8001001C
	ds_read_b128 a[32:35], v31 offset:26880                    // 0000000037DC: DBFE6900 2000001F
	ds_read_b128 a[36:39], v31 offset:26944                    // 0000000037E4: DBFE6940 2400001F
	v_mfma_f32_16x16x16_bf16 v[44:47], a[108:109], a[68:69], v[44:47]// 0000000037EC: D3E1002C 1CB2896C
	s_add_u32 m0, 0xa00, s47                                   // 0000000037F4: 807C2FFF 00000A00
	buffer_load_dword v29, s[4:7], 0 offen lds                 // 0000000037FC: E0511000 8001001D
	v_mfma_f32_16x16x16_bf16 v[44:47], a[110:111], a[70:71], v[44:47]// 000000003804: D3E1002C 1CB28D6E
	s_add_u32 m0, 0xb00, s47                                   // 00000000380C: 807C2FFF 00000B00
	buffer_load_dword v30, s[4:7], 0 offen lds                 // 000000003814: E0511000 8001001E
	ds_read_b128 a[40:43], v31 offset:27392                    // 00000000381C: DBFE6B00 2800001F
	ds_read_b128 a[44:47], v31 offset:27456                    // 000000003824: DBFE6B40 2C00001F
	v_mfma_f32_16x16x16_bf16 v[48:51], a[104:105], a[72:73], v[48:51]// 00000000382C: D3E10030 1CC29168
	s_add_u32 s31, 0x100, s33                                  // 000000003834: 801F21FF 00000100
	s_cmp_lt_u32 s31, s34                                      // 00000000383C: BF0A221F
	s_cselect_b32 s44, s44, 0                                  // 000000003840: 852C802C
	buffer_load_dwordx4 a[96:99], v32, s[8:11], 0 offen        // 000000003844: E05C1000 80826020
	v_mfma_f32_16x16x16_bf16 v[48:51], a[106:107], a[74:75], v[48:51]// 00000000384C: D3E10030 1CC2956A
	buffer_load_dwordx4 a[100:103], v33, s[8:11], 0 offen      // 000000003854: E05C1000 80826421
	s_add_u32 s4, s44, s4                                      // 00000000385C: 8004042C
	s_addc_u32 s5, 0, s5                                       // 000000003860: 82050580
	v_mfma_f32_16x16x16_bf16 v[48:51], a[108:109], a[76:77], v[48:51]// 000000003864: D3E10030 1CC2996C
	s_add_u32 s31, 0xc0, s33                                   // 00000000386C: 801F21FF 000000C0
	s_cmp_lt_u32 s31, s34                                      // 000000003874: BF0A221F
	s_cselect_b32 s45, s45, 0                                  // 000000003878: 852D802D
	v_mfma_f32_16x16x16_bf16 v[48:51], a[110:111], a[78:79], v[48:51]// 00000000387C: D3E10030 1CC29D6E
	s_add_u32 s8, s45, s8                                      // 000000003884: 8008082D
	s_addc_u32 s9, 0, s9                                       // 000000003888: 82090980
	v_mfma_f32_16x16x16_bf16 v[52:55], a[104:105], a[80:81], v[52:55]// 00000000388C: D3E10034 1CD2A168
	v_mfma_f32_16x16x16_bf16 v[52:55], a[106:107], a[82:83], v[52:55]// 000000003894: D3E10034 1CD2A56A
	v_mfma_f32_16x16x16_bf16 v[52:55], a[108:109], a[84:85], v[52:55]// 00000000389C: D3E10034 1CD2A96C
	v_mfma_f32_16x16x16_bf16 v[52:55], a[110:111], a[86:87], v[52:55]// 0000000038A4: D3E10034 1CD2AD6E
	v_mfma_f32_16x16x16_bf16 v[56:59], a[104:105], a[88:89], v[56:59]// 0000000038AC: D3E10038 1CE2B168
	v_mfma_f32_16x16x16_bf16 v[56:59], a[106:107], a[90:91], v[56:59]// 0000000038B4: D3E10038 1CE2B56A
	v_mfma_f32_16x16x16_bf16 v[56:59], a[108:109], a[92:93], v[56:59]// 0000000038BC: D3E10038 1CE2B96C
	v_mfma_f32_16x16x16_bf16 v[56:59], a[110:111], a[94:95], v[56:59]// 0000000038C4: D3E10038 1CE2BD6E
	s_addk_i32 s33, 0x40                                       // 0000000038CC: B7210040
	s_cmp_lt_i32 s33, s34                                      // 0000000038D0: BF042221
	s_cbranch_scc0 label_0930                                  // 0000000038D4: BF84057A
	s_waitcnt vmcnt(14) lgkmcnt(0)                             // 0000000038D8: BF8C007E
	s_barrier                                                  // 0000000038DC: BF8A0000
	v_mfma_f32_16x16x16_bf16 v[36:39], a[112:113], a[0:1], v[36:39]// 0000000038E0: D3E10024 1C920170
	s_add_u32 m0, 0, s48                                       // 0000000038E8: 807C3080
	buffer_load_dword v19, s[4:7], 0 offen lds                 // 0000000038EC: E0511000 80010013
	v_mfma_f32_16x16x16_bf16 v[36:39], a[114:115], a[2:3], v[36:39]// 0000000038F4: D3E10024 1C920572
	s_add_u32 m0, 0x100, s48                                   // 0000000038FC: 807C30FF 00000100
	buffer_load_dword v20, s[4:7], 0 offen lds                 // 000000003904: E0511000 80010014
	ds_read_b128 a[48:51], v31                                 // 00000000390C: DBFE0000 3000001F
	ds_read_b128 a[52:55], v31 offset:64                       // 000000003914: DBFE0040 3400001F
	v_mfma_f32_16x16x16_bf16 v[36:39], a[116:117], a[4:5], v[36:39]// 00000000391C: D3E10024 1C920974
	s_add_u32 m0, 0x200, s48                                   // 000000003924: 807C30FF 00000200
	buffer_load_dword v21, s[4:7], 0 offen lds                 // 00000000392C: E0511000 80010015
	v_mfma_f32_16x16x16_bf16 v[36:39], a[118:119], a[6:7], v[36:39]// 000000003934: D3E10024 1C920D76
	s_add_u32 m0, 0x300, s48                                   // 00000000393C: 807C30FF 00000300
	buffer_load_dword v22, s[4:7], 0 offen lds                 // 000000003944: E0511000 80010016
	ds_read_b128 a[56:59], v31 offset:512                      // 00000000394C: DBFE0200 3800001F
	ds_read_b128 a[60:63], v31 offset:576                      // 000000003954: DBFE0240 3C00001F
	v_mfma_f32_16x16x16_bf16 v[40:43], a[112:113], a[8:9], v[40:43]// 00000000395C: D3E10028 1CA21170
	s_add_u32 m0, 0x400, s48                                   // 000000003964: 807C30FF 00000400
	buffer_load_dword v23, s[4:7], 0 offen lds                 // 00000000396C: E0511000 80010017
	v_mfma_f32_16x16x16_bf16 v[40:43], a[114:115], a[10:11], v[40:43]// 000000003974: D3E10028 1CA21572
	s_add_u32 m0, 0x500, s48                                   // 00000000397C: 807C30FF 00000500
	buffer_load_dword v24, s[4:7], 0 offen lds                 // 000000003984: E0511000 80010018
	ds_read_b128 a[64:67], v31 offset:1024                     // 00000000398C: DBFE0400 4000001F
	ds_read_b128 a[68:71], v31 offset:1088                     // 000000003994: DBFE0440 4400001F
	v_mfma_f32_16x16x16_bf16 v[40:43], a[116:117], a[12:13], v[40:43]// 00000000399C: D3E10028 1CA21974
	s_add_u32 m0, 0x600, s48                                   // 0000000039A4: 807C30FF 00000600
	buffer_load_dword v25, s[4:7], 0 offen lds                 // 0000000039AC: E0511000 80010019
	v_mfma_f32_16x16x16_bf16 v[40:43], a[118:119], a[14:15], v[40:43]// 0000000039B4: D3E10028 1CA21D76
	s_add_u32 m0, 0x700, s48                                   // 0000000039BC: 807C30FF 00000700
	buffer_load_dword v26, s[4:7], 0 offen lds                 // 0000000039C4: E0511000 8001001A
	ds_read_b128 a[72:75], v31 offset:1536                     // 0000000039CC: DBFE0600 4800001F
	ds_read_b128 a[76:79], v31 offset:1600                     // 0000000039D4: DBFE0640 4C00001F
	v_mfma_f32_16x16x16_bf16 v[44:47], a[112:113], a[16:17], v[44:47]// 0000000039DC: D3E1002C 1CB22170
	s_add_u32 m0, 0x800, s48                                   // 0000000039E4: 807C30FF 00000800
	buffer_load_dword v27, s[4:7], 0 offen lds                 // 0000000039EC: E0511000 8001001B
	v_mfma_f32_16x16x16_bf16 v[44:47], a[114:115], a[18:19], v[44:47]// 0000000039F4: D3E1002C 1CB22572
	s_add_u32 m0, 0x900, s48                                   // 0000000039FC: 807C30FF 00000900
	buffer_load_dword v28, s[4:7], 0 offen lds                 // 000000003A04: E0511000 8001001C
	ds_read_b128 a[80:83], v31 offset:2048                     // 000000003A0C: DBFE0800 5000001F
	ds_read_b128 a[84:87], v31 offset:2112                     // 000000003A14: DBFE0840 5400001F
	v_mfma_f32_16x16x16_bf16 v[44:47], a[116:117], a[20:21], v[44:47]// 000000003A1C: D3E1002C 1CB22974
	s_add_u32 m0, 0xa00, s48                                   // 000000003A24: 807C30FF 00000A00
	buffer_load_dword v29, s[4:7], 0 offen lds                 // 000000003A2C: E0511000 8001001D
	v_mfma_f32_16x16x16_bf16 v[44:47], a[118:119], a[22:23], v[44:47]// 000000003A34: D3E1002C 1CB22D76
	s_add_u32 m0, 0xb00, s48                                   // 000000003A3C: 807C30FF 00000B00
	buffer_load_dword v30, s[4:7], 0 offen lds                 // 000000003A44: E0511000 8001001E
	ds_read_b128 a[88:91], v31 offset:2560                     // 000000003A4C: DBFE0A00 5800001F
	ds_read_b128 a[92:95], v31 offset:2624                     // 000000003A54: DBFE0A40 5C00001F
	v_mfma_f32_16x16x16_bf16 v[48:51], a[112:113], a[24:25], v[48:51]// 000000003A5C: D3E10030 1CC23170
	s_add_u32 s31, 0x100, s33                                  // 000000003A64: 801F21FF 00000100
	s_cmp_lt_u32 s31, s34                                      // 000000003A6C: BF0A221F
	s_cselect_b32 s44, s44, 0                                  // 000000003A70: 852C802C
	buffer_load_dwordx4 a[104:107], v32, s[8:11], 0 offen      // 000000003A74: E05C1000 80826820
	v_mfma_f32_16x16x16_bf16 v[48:51], a[114:115], a[26:27], v[48:51]// 000000003A7C: D3E10030 1CC23572
	buffer_load_dwordx4 a[108:111], v33, s[8:11], 0 offen      // 000000003A84: E05C1000 80826C21
	s_add_u32 s4, s44, s4                                      // 000000003A8C: 8004042C
	s_addc_u32 s5, 0, s5                                       // 000000003A90: 82050580
	v_mfma_f32_16x16x16_bf16 v[48:51], a[116:117], a[28:29], v[48:51]// 000000003A94: D3E10030 1CC23974
	s_add_u32 s31, 0xc0, s33                                   // 000000003A9C: 801F21FF 000000C0
	s_cmp_lt_u32 s31, s34                                      // 000000003AA4: BF0A221F
	s_cselect_b32 s45, s45, 0                                  // 000000003AA8: 852D802D
	v_mfma_f32_16x16x16_bf16 v[48:51], a[118:119], a[30:31], v[48:51]// 000000003AAC: D3E10030 1CC23D76
	s_add_u32 s8, s45, s8                                      // 000000003AB4: 8008082D
	s_addc_u32 s9, 0, s9                                       // 000000003AB8: 82090980
	v_mfma_f32_16x16x16_bf16 v[52:55], a[112:113], a[32:33], v[52:55]// 000000003ABC: D3E10034 1CD24170
	v_mfma_f32_16x16x16_bf16 v[52:55], a[114:115], a[34:35], v[52:55]// 000000003AC4: D3E10034 1CD24572
	v_mfma_f32_16x16x16_bf16 v[52:55], a[116:117], a[36:37], v[52:55]// 000000003ACC: D3E10034 1CD24974
	v_mfma_f32_16x16x16_bf16 v[52:55], a[118:119], a[38:39], v[52:55]// 000000003AD4: D3E10034 1CD24D76
	v_mfma_f32_16x16x16_bf16 v[56:59], a[112:113], a[40:41], v[56:59]// 000000003ADC: D3E10038 1CE25170
	v_mfma_f32_16x16x16_bf16 v[56:59], a[114:115], a[42:43], v[56:59]// 000000003AE4: D3E10038 1CE25572
	v_mfma_f32_16x16x16_bf16 v[56:59], a[116:117], a[44:45], v[56:59]// 000000003AEC: D3E10038 1CE25974
	v_mfma_f32_16x16x16_bf16 v[56:59], a[118:119], a[46:47], v[56:59]// 000000003AF4: D3E10038 1CE25D76
	s_addk_i32 s33, 0x40                                       // 000000003AFC: B7210040
	s_cmp_lt_i32 s33, s34                                      // 000000003B00: BF042221
	s_cbranch_scc0 label_0930                                  // 000000003B04: BF8404EE
	s_waitcnt vmcnt(14) lgkmcnt(0)                             // 000000003B08: BF8C007E
	s_barrier                                                  // 000000003B0C: BF8A0000
	v_mfma_f32_16x16x16_bf16 v[36:39], a[96:97], a[48:49], v[36:39]// 000000003B10: D3E10024 1C926160
	s_add_u32 m0, 0, s46                                       // 000000003B18: 807C2E80
	buffer_load_dword v19, s[4:7], 0 offen lds                 // 000000003B1C: E0511000 80010013
	v_mfma_f32_16x16x16_bf16 v[36:39], a[98:99], a[50:51], v[36:39]// 000000003B24: D3E10024 1C926562
	s_add_u32 m0, 0x100, s46                                   // 000000003B2C: 807C2EFF 00000100
	buffer_load_dword v20, s[4:7], 0 offen lds                 // 000000003B34: E0511000 80010014
	ds_read_b128 a[0:3], v31 offset:12416                      // 000000003B3C: DBFE3080 0000001F
	ds_read_b128 a[4:7], v31 offset:12480                      // 000000003B44: DBFE30C0 0400001F
	v_mfma_f32_16x16x16_bf16 v[36:39], a[100:101], a[52:53], v[36:39]// 000000003B4C: D3E10024 1C926964
	s_add_u32 m0, 0x200, s46                                   // 000000003B54: 807C2EFF 00000200
	buffer_load_dword v21, s[4:7], 0 offen lds                 // 000000003B5C: E0511000 80010015
	v_mfma_f32_16x16x16_bf16 v[36:39], a[102:103], a[54:55], v[36:39]// 000000003B64: D3E10024 1C926D66
	s_add_u32 m0, 0x300, s46                                   // 000000003B6C: 807C2EFF 00000300
	buffer_load_dword v22, s[4:7], 0 offen lds                 // 000000003B74: E0511000 80010016
	ds_read_b128 a[8:11], v31 offset:12928                     // 000000003B7C: DBFE3280 0800001F
	ds_read_b128 a[12:15], v31 offset:12992                    // 000000003B84: DBFE32C0 0C00001F
	v_mfma_f32_16x16x16_bf16 v[40:43], a[96:97], a[56:57], v[40:43]// 000000003B8C: D3E10028 1CA27160
	s_add_u32 m0, 0x400, s46                                   // 000000003B94: 807C2EFF 00000400
	buffer_load_dword v23, s[4:7], 0 offen lds                 // 000000003B9C: E0511000 80010017
	v_mfma_f32_16x16x16_bf16 v[40:43], a[98:99], a[58:59], v[40:43]// 000000003BA4: D3E10028 1CA27562
	s_add_u32 m0, 0x500, s46                                   // 000000003BAC: 807C2EFF 00000500
	buffer_load_dword v24, s[4:7], 0 offen lds                 // 000000003BB4: E0511000 80010018
	ds_read_b128 a[16:19], v31 offset:13440                    // 000000003BBC: DBFE3480 1000001F
	ds_read_b128 a[20:23], v31 offset:13504                    // 000000003BC4: DBFE34C0 1400001F
	v_mfma_f32_16x16x16_bf16 v[40:43], a[100:101], a[60:61], v[40:43]// 000000003BCC: D3E10028 1CA27964
	s_add_u32 m0, 0x600, s46                                   // 000000003BD4: 807C2EFF 00000600
	buffer_load_dword v25, s[4:7], 0 offen lds                 // 000000003BDC: E0511000 80010019
	v_mfma_f32_16x16x16_bf16 v[40:43], a[102:103], a[62:63], v[40:43]// 000000003BE4: D3E10028 1CA27D66
	s_add_u32 m0, 0x700, s46                                   // 000000003BEC: 807C2EFF 00000700
	buffer_load_dword v26, s[4:7], 0 offen lds                 // 000000003BF4: E0511000 8001001A
	ds_read_b128 a[24:27], v31 offset:13952                    // 000000003BFC: DBFE3680 1800001F
	ds_read_b128 a[28:31], v31 offset:14016                    // 000000003C04: DBFE36C0 1C00001F
	v_mfma_f32_16x16x16_bf16 v[44:47], a[96:97], a[64:65], v[44:47]// 000000003C0C: D3E1002C 1CB28160
	s_add_u32 m0, 0x800, s46                                   // 000000003C14: 807C2EFF 00000800
	buffer_load_dword v27, s[4:7], 0 offen lds                 // 000000003C1C: E0511000 8001001B
	v_mfma_f32_16x16x16_bf16 v[44:47], a[98:99], a[66:67], v[44:47]// 000000003C24: D3E1002C 1CB28562
	s_add_u32 m0, 0x900, s46                                   // 000000003C2C: 807C2EFF 00000900
	buffer_load_dword v28, s[4:7], 0 offen lds                 // 000000003C34: E0511000 8001001C
	ds_read_b128 a[32:35], v31 offset:14464                    // 000000003C3C: DBFE3880 2000001F
	ds_read_b128 a[36:39], v31 offset:14528                    // 000000003C44: DBFE38C0 2400001F
	v_mfma_f32_16x16x16_bf16 v[44:47], a[100:101], a[68:69], v[44:47]// 000000003C4C: D3E1002C 1CB28964
	s_add_u32 m0, 0xa00, s46                                   // 000000003C54: 807C2EFF 00000A00
	buffer_load_dword v29, s[4:7], 0 offen lds                 // 000000003C5C: E0511000 8001001D
	v_mfma_f32_16x16x16_bf16 v[44:47], a[102:103], a[70:71], v[44:47]// 000000003C64: D3E1002C 1CB28D66
	s_add_u32 m0, 0xb00, s46                                   // 000000003C6C: 807C2EFF 00000B00
	buffer_load_dword v30, s[4:7], 0 offen lds                 // 000000003C74: E0511000 8001001E
	ds_read_b128 a[40:43], v31 offset:14976                    // 000000003C7C: DBFE3A80 2800001F
	ds_read_b128 a[44:47], v31 offset:15040                    // 000000003C84: DBFE3AC0 2C00001F
	v_mfma_f32_16x16x16_bf16 v[48:51], a[96:97], a[72:73], v[48:51]// 000000003C8C: D3E10030 1CC29160
	s_add_u32 s31, 0x100, s33                                  // 000000003C94: 801F21FF 00000100
	s_cmp_lt_u32 s31, s34                                      // 000000003C9C: BF0A221F
	s_cselect_b32 s44, s44, 0                                  // 000000003CA0: 852C802C
	buffer_load_dwordx4 a[112:115], v32, s[8:11], 0 offen      // 000000003CA4: E05C1000 80827020
	v_mfma_f32_16x16x16_bf16 v[48:51], a[98:99], a[74:75], v[48:51]// 000000003CAC: D3E10030 1CC29562
	buffer_load_dwordx4 a[116:119], v33, s[8:11], 0 offen      // 000000003CB4: E05C1000 80827421
	s_add_u32 s4, s44, s4                                      // 000000003CBC: 8004042C
	s_addc_u32 s5, 0, s5                                       // 000000003CC0: 82050580
	v_mfma_f32_16x16x16_bf16 v[48:51], a[100:101], a[76:77], v[48:51]// 000000003CC4: D3E10030 1CC29964
	s_add_u32 s31, 0xc0, s33                                   // 000000003CCC: 801F21FF 000000C0
	s_cmp_lt_u32 s31, s34                                      // 000000003CD4: BF0A221F
	s_cselect_b32 s45, s45, 0                                  // 000000003CD8: 852D802D
	v_mfma_f32_16x16x16_bf16 v[48:51], a[102:103], a[78:79], v[48:51]// 000000003CDC: D3E10030 1CC29D66
	s_add_u32 s8, s45, s8                                      // 000000003CE4: 8008082D
	s_addc_u32 s9, 0, s9                                       // 000000003CE8: 82090980
	v_mfma_f32_16x16x16_bf16 v[52:55], a[96:97], a[80:81], v[52:55]// 000000003CEC: D3E10034 1CD2A160
	v_mfma_f32_16x16x16_bf16 v[52:55], a[98:99], a[82:83], v[52:55]// 000000003CF4: D3E10034 1CD2A562
	v_mfma_f32_16x16x16_bf16 v[52:55], a[100:101], a[84:85], v[52:55]// 000000003CFC: D3E10034 1CD2A964
	v_mfma_f32_16x16x16_bf16 v[52:55], a[102:103], a[86:87], v[52:55]// 000000003D04: D3E10034 1CD2AD66
	v_mfma_f32_16x16x16_bf16 v[56:59], a[96:97], a[88:89], v[56:59]// 000000003D0C: D3E10038 1CE2B160
	v_mfma_f32_16x16x16_bf16 v[56:59], a[98:99], a[90:91], v[56:59]// 000000003D14: D3E10038 1CE2B562
	v_mfma_f32_16x16x16_bf16 v[56:59], a[100:101], a[92:93], v[56:59]// 000000003D1C: D3E10038 1CE2B964
	v_mfma_f32_16x16x16_bf16 v[56:59], a[102:103], a[94:95], v[56:59]// 000000003D24: D3E10038 1CE2BD66
	s_addk_i32 s33, 0x40                                       // 000000003D2C: B7210040
	s_cmp_lt_i32 s33, s34                                      // 000000003D30: BF042221
	s_cbranch_scc0 label_0930                                  // 000000003D34: BF840462
	s_waitcnt vmcnt(14) lgkmcnt(0)                             // 000000003D38: BF8C007E
	s_barrier                                                  // 000000003D3C: BF8A0000
	v_mfma_f32_16x16x16_bf16 v[36:39], a[104:105], a[0:1], v[36:39]// 000000003D40: D3E10024 1C920168
	s_add_u32 m0, 0, s47                                       // 000000003D48: 807C2F80
	buffer_load_dword v19, s[4:7], 0 offen lds                 // 000000003D4C: E0511000 80010013
	v_mfma_f32_16x16x16_bf16 v[36:39], a[106:107], a[2:3], v[36:39]// 000000003D54: D3E10024 1C92056A
	s_add_u32 m0, 0x100, s47                                   // 000000003D5C: 807C2FFF 00000100
	buffer_load_dword v20, s[4:7], 0 offen lds                 // 000000003D64: E0511000 80010014
	ds_read_b128 a[48:51], v31 offset:24832                    // 000000003D6C: DBFE6100 3000001F
	ds_read_b128 a[52:55], v31 offset:24896                    // 000000003D74: DBFE6140 3400001F
	v_mfma_f32_16x16x16_bf16 v[36:39], a[108:109], a[4:5], v[36:39]// 000000003D7C: D3E10024 1C92096C
	s_add_u32 m0, 0x200, s47                                   // 000000003D84: 807C2FFF 00000200
	buffer_load_dword v21, s[4:7], 0 offen lds                 // 000000003D8C: E0511000 80010015
	v_mfma_f32_16x16x16_bf16 v[36:39], a[110:111], a[6:7], v[36:39]// 000000003D94: D3E10024 1C920D6E
	s_add_u32 m0, 0x300, s47                                   // 000000003D9C: 807C2FFF 00000300
	buffer_load_dword v22, s[4:7], 0 offen lds                 // 000000003DA4: E0511000 80010016
	ds_read_b128 a[56:59], v31 offset:25344                    // 000000003DAC: DBFE6300 3800001F
	ds_read_b128 a[60:63], v31 offset:25408                    // 000000003DB4: DBFE6340 3C00001F
	v_mfma_f32_16x16x16_bf16 v[40:43], a[104:105], a[8:9], v[40:43]// 000000003DBC: D3E10028 1CA21168
	s_add_u32 m0, 0x400, s47                                   // 000000003DC4: 807C2FFF 00000400
	buffer_load_dword v23, s[4:7], 0 offen lds                 // 000000003DCC: E0511000 80010017
	v_mfma_f32_16x16x16_bf16 v[40:43], a[106:107], a[10:11], v[40:43]// 000000003DD4: D3E10028 1CA2156A
	s_add_u32 m0, 0x500, s47                                   // 000000003DDC: 807C2FFF 00000500
	buffer_load_dword v24, s[4:7], 0 offen lds                 // 000000003DE4: E0511000 80010018
	ds_read_b128 a[64:67], v31 offset:25856                    // 000000003DEC: DBFE6500 4000001F
	ds_read_b128 a[68:71], v31 offset:25920                    // 000000003DF4: DBFE6540 4400001F
	v_mfma_f32_16x16x16_bf16 v[40:43], a[108:109], a[12:13], v[40:43]// 000000003DFC: D3E10028 1CA2196C
	s_add_u32 m0, 0x600, s47                                   // 000000003E04: 807C2FFF 00000600
	buffer_load_dword v25, s[4:7], 0 offen lds                 // 000000003E0C: E0511000 80010019
	v_mfma_f32_16x16x16_bf16 v[40:43], a[110:111], a[14:15], v[40:43]// 000000003E14: D3E10028 1CA21D6E
	s_add_u32 m0, 0x700, s47                                   // 000000003E1C: 807C2FFF 00000700
	buffer_load_dword v26, s[4:7], 0 offen lds                 // 000000003E24: E0511000 8001001A
	ds_read_b128 a[72:75], v31 offset:26368                    // 000000003E2C: DBFE6700 4800001F
	ds_read_b128 a[76:79], v31 offset:26432                    // 000000003E34: DBFE6740 4C00001F
	v_mfma_f32_16x16x16_bf16 v[44:47], a[104:105], a[16:17], v[44:47]// 000000003E3C: D3E1002C 1CB22168
	s_add_u32 m0, 0x800, s47                                   // 000000003E44: 807C2FFF 00000800
	buffer_load_dword v27, s[4:7], 0 offen lds                 // 000000003E4C: E0511000 8001001B
	v_mfma_f32_16x16x16_bf16 v[44:47], a[106:107], a[18:19], v[44:47]// 000000003E54: D3E1002C 1CB2256A
	s_add_u32 m0, 0x900, s47                                   // 000000003E5C: 807C2FFF 00000900
	buffer_load_dword v28, s[4:7], 0 offen lds                 // 000000003E64: E0511000 8001001C
	ds_read_b128 a[80:83], v31 offset:26880                    // 000000003E6C: DBFE6900 5000001F
	ds_read_b128 a[84:87], v31 offset:26944                    // 000000003E74: DBFE6940 5400001F
	v_mfma_f32_16x16x16_bf16 v[44:47], a[108:109], a[20:21], v[44:47]// 000000003E7C: D3E1002C 1CB2296C
	s_add_u32 m0, 0xa00, s47                                   // 000000003E84: 807C2FFF 00000A00
	buffer_load_dword v29, s[4:7], 0 offen lds                 // 000000003E8C: E0511000 8001001D
	v_mfma_f32_16x16x16_bf16 v[44:47], a[110:111], a[22:23], v[44:47]// 000000003E94: D3E1002C 1CB22D6E
	s_add_u32 m0, 0xb00, s47                                   // 000000003E9C: 807C2FFF 00000B00
	buffer_load_dword v30, s[4:7], 0 offen lds                 // 000000003EA4: E0511000 8001001E
	ds_read_b128 a[88:91], v31 offset:27392                    // 000000003EAC: DBFE6B00 5800001F
	ds_read_b128 a[92:95], v31 offset:27456                    // 000000003EB4: DBFE6B40 5C00001F
	v_mfma_f32_16x16x16_bf16 v[48:51], a[104:105], a[24:25], v[48:51]// 000000003EBC: D3E10030 1CC23168
	s_add_u32 s31, 0x100, s33                                  // 000000003EC4: 801F21FF 00000100
	s_cmp_lt_u32 s31, s34                                      // 000000003ECC: BF0A221F
	s_cselect_b32 s44, s44, 0                                  // 000000003ED0: 852C802C
	buffer_load_dwordx4 a[96:99], v32, s[8:11], 0 offen        // 000000003ED4: E05C1000 80826020
	v_mfma_f32_16x16x16_bf16 v[48:51], a[106:107], a[26:27], v[48:51]// 000000003EDC: D3E10030 1CC2356A
	buffer_load_dwordx4 a[100:103], v33, s[8:11], 0 offen      // 000000003EE4: E05C1000 80826421
	s_add_u32 s4, s44, s4                                      // 000000003EEC: 8004042C
	s_addc_u32 s5, 0, s5                                       // 000000003EF0: 82050580
	v_mfma_f32_16x16x16_bf16 v[48:51], a[108:109], a[28:29], v[48:51]// 000000003EF4: D3E10030 1CC2396C
	s_add_u32 s31, 0xc0, s33                                   // 000000003EFC: 801F21FF 000000C0
	s_cmp_lt_u32 s31, s34                                      // 000000003F04: BF0A221F
	s_cselect_b32 s45, s45, 0                                  // 000000003F08: 852D802D
	v_mfma_f32_16x16x16_bf16 v[48:51], a[110:111], a[30:31], v[48:51]// 000000003F0C: D3E10030 1CC23D6E
	s_add_u32 s8, s45, s8                                      // 000000003F14: 8008082D
	s_addc_u32 s9, 0, s9                                       // 000000003F18: 82090980
	v_mfma_f32_16x16x16_bf16 v[52:55], a[104:105], a[32:33], v[52:55]// 000000003F1C: D3E10034 1CD24168
	v_mfma_f32_16x16x16_bf16 v[52:55], a[106:107], a[34:35], v[52:55]// 000000003F24: D3E10034 1CD2456A
	v_mfma_f32_16x16x16_bf16 v[52:55], a[108:109], a[36:37], v[52:55]// 000000003F2C: D3E10034 1CD2496C
	v_mfma_f32_16x16x16_bf16 v[52:55], a[110:111], a[38:39], v[52:55]// 000000003F34: D3E10034 1CD24D6E
	v_mfma_f32_16x16x16_bf16 v[56:59], a[104:105], a[40:41], v[56:59]// 000000003F3C: D3E10038 1CE25168
	v_mfma_f32_16x16x16_bf16 v[56:59], a[106:107], a[42:43], v[56:59]// 000000003F44: D3E10038 1CE2556A
	v_mfma_f32_16x16x16_bf16 v[56:59], a[108:109], a[44:45], v[56:59]// 000000003F4C: D3E10038 1CE2596C
	v_mfma_f32_16x16x16_bf16 v[56:59], a[110:111], a[46:47], v[56:59]// 000000003F54: D3E10038 1CE25D6E
	s_addk_i32 s33, 0x40                                       // 000000003F5C: B7210040
	s_cmp_lt_i32 s33, s34                                      // 000000003F60: BF042221
	s_cbranch_scc0 label_0930                                  // 000000003F64: BF8403D6
	s_waitcnt vmcnt(14) lgkmcnt(0)                             // 000000003F68: BF8C007E
	s_barrier                                                  // 000000003F6C: BF8A0000
	v_mfma_f32_16x16x16_bf16 v[36:39], a[112:113], a[48:49], v[36:39]// 000000003F70: D3E10024 1C926170
	s_add_u32 m0, 0, s48                                       // 000000003F78: 807C3080
	buffer_load_dword v19, s[4:7], 0 offen lds                 // 000000003F7C: E0511000 80010013
	v_mfma_f32_16x16x16_bf16 v[36:39], a[114:115], a[50:51], v[36:39]// 000000003F84: D3E10024 1C926572
	s_add_u32 m0, 0x100, s48                                   // 000000003F8C: 807C30FF 00000100
	buffer_load_dword v20, s[4:7], 0 offen lds                 // 000000003F94: E0511000 80010014
	ds_read_b128 a[0:3], v31                                   // 000000003F9C: DBFE0000 0000001F
	ds_read_b128 a[4:7], v31 offset:64                         // 000000003FA4: DBFE0040 0400001F
	v_mfma_f32_16x16x16_bf16 v[36:39], a[116:117], a[52:53], v[36:39]// 000000003FAC: D3E10024 1C926974
	s_add_u32 m0, 0x200, s48                                   // 000000003FB4: 807C30FF 00000200
	buffer_load_dword v21, s[4:7], 0 offen lds                 // 000000003FBC: E0511000 80010015
	v_mfma_f32_16x16x16_bf16 v[36:39], a[118:119], a[54:55], v[36:39]// 000000003FC4: D3E10024 1C926D76
	s_add_u32 m0, 0x300, s48                                   // 000000003FCC: 807C30FF 00000300
	buffer_load_dword v22, s[4:7], 0 offen lds                 // 000000003FD4: E0511000 80010016
	ds_read_b128 a[8:11], v31 offset:512                       // 000000003FDC: DBFE0200 0800001F
	ds_read_b128 a[12:15], v31 offset:576                      // 000000003FE4: DBFE0240 0C00001F
	v_mfma_f32_16x16x16_bf16 v[40:43], a[112:113], a[56:57], v[40:43]// 000000003FEC: D3E10028 1CA27170
	s_add_u32 m0, 0x400, s48                                   // 000000003FF4: 807C30FF 00000400
	buffer_load_dword v23, s[4:7], 0 offen lds                 // 000000003FFC: E0511000 80010017
	v_mfma_f32_16x16x16_bf16 v[40:43], a[114:115], a[58:59], v[40:43]// 000000004004: D3E10028 1CA27572
	s_add_u32 m0, 0x500, s48                                   // 00000000400C: 807C30FF 00000500
	buffer_load_dword v24, s[4:7], 0 offen lds                 // 000000004014: E0511000 80010018
	ds_read_b128 a[16:19], v31 offset:1024                     // 00000000401C: DBFE0400 1000001F
	ds_read_b128 a[20:23], v31 offset:1088                     // 000000004024: DBFE0440 1400001F
	v_mfma_f32_16x16x16_bf16 v[40:43], a[116:117], a[60:61], v[40:43]// 00000000402C: D3E10028 1CA27974
	s_add_u32 m0, 0x600, s48                                   // 000000004034: 807C30FF 00000600
	buffer_load_dword v25, s[4:7], 0 offen lds                 // 00000000403C: E0511000 80010019
	v_mfma_f32_16x16x16_bf16 v[40:43], a[118:119], a[62:63], v[40:43]// 000000004044: D3E10028 1CA27D76
	s_add_u32 m0, 0x700, s48                                   // 00000000404C: 807C30FF 00000700
	buffer_load_dword v26, s[4:7], 0 offen lds                 // 000000004054: E0511000 8001001A
	ds_read_b128 a[24:27], v31 offset:1536                     // 00000000405C: DBFE0600 1800001F
	ds_read_b128 a[28:31], v31 offset:1600                     // 000000004064: DBFE0640 1C00001F
	v_mfma_f32_16x16x16_bf16 v[44:47], a[112:113], a[64:65], v[44:47]// 00000000406C: D3E1002C 1CB28170
	s_add_u32 m0, 0x800, s48                                   // 000000004074: 807C30FF 00000800
	buffer_load_dword v27, s[4:7], 0 offen lds                 // 00000000407C: E0511000 8001001B
	v_mfma_f32_16x16x16_bf16 v[44:47], a[114:115], a[66:67], v[44:47]// 000000004084: D3E1002C 1CB28572
	s_add_u32 m0, 0x900, s48                                   // 00000000408C: 807C30FF 00000900
	buffer_load_dword v28, s[4:7], 0 offen lds                 // 000000004094: E0511000 8001001C
	ds_read_b128 a[32:35], v31 offset:2048                     // 00000000409C: DBFE0800 2000001F
	ds_read_b128 a[36:39], v31 offset:2112                     // 0000000040A4: DBFE0840 2400001F
	v_mfma_f32_16x16x16_bf16 v[44:47], a[116:117], a[68:69], v[44:47]// 0000000040AC: D3E1002C 1CB28974
	s_add_u32 m0, 0xa00, s48                                   // 0000000040B4: 807C30FF 00000A00
	buffer_load_dword v29, s[4:7], 0 offen lds                 // 0000000040BC: E0511000 8001001D
	v_mfma_f32_16x16x16_bf16 v[44:47], a[118:119], a[70:71], v[44:47]// 0000000040C4: D3E1002C 1CB28D76
	s_add_u32 m0, 0xb00, s48                                   // 0000000040CC: 807C30FF 00000B00
	buffer_load_dword v30, s[4:7], 0 offen lds                 // 0000000040D4: E0511000 8001001E
	ds_read_b128 a[40:43], v31 offset:2560                     // 0000000040DC: DBFE0A00 2800001F
	ds_read_b128 a[44:47], v31 offset:2624                     // 0000000040E4: DBFE0A40 2C00001F
	v_mfma_f32_16x16x16_bf16 v[48:51], a[112:113], a[72:73], v[48:51]// 0000000040EC: D3E10030 1CC29170
	s_add_u32 s31, 0x100, s33                                  // 0000000040F4: 801F21FF 00000100
	s_cmp_lt_u32 s31, s34                                      // 0000000040FC: BF0A221F
	s_cselect_b32 s44, s44, 0                                  // 000000004100: 852C802C
	buffer_load_dwordx4 a[104:107], v32, s[8:11], 0 offen      // 000000004104: E05C1000 80826820
	v_mfma_f32_16x16x16_bf16 v[48:51], a[114:115], a[74:75], v[48:51]// 00000000410C: D3E10030 1CC29572
	buffer_load_dwordx4 a[108:111], v33, s[8:11], 0 offen      // 000000004114: E05C1000 80826C21
	s_add_u32 s4, s44, s4                                      // 00000000411C: 8004042C
	s_addc_u32 s5, 0, s5                                       // 000000004120: 82050580
	v_mfma_f32_16x16x16_bf16 v[48:51], a[116:117], a[76:77], v[48:51]// 000000004124: D3E10030 1CC29974
	s_add_u32 s31, 0xc0, s33                                   // 00000000412C: 801F21FF 000000C0
	s_cmp_lt_u32 s31, s34                                      // 000000004134: BF0A221F
	s_cselect_b32 s45, s45, 0                                  // 000000004138: 852D802D
	v_mfma_f32_16x16x16_bf16 v[48:51], a[118:119], a[78:79], v[48:51]// 00000000413C: D3E10030 1CC29D76
	s_add_u32 s8, s45, s8                                      // 000000004144: 8008082D
	s_addc_u32 s9, 0, s9                                       // 000000004148: 82090980
	v_mfma_f32_16x16x16_bf16 v[52:55], a[112:113], a[80:81], v[52:55]// 00000000414C: D3E10034 1CD2A170
	v_mfma_f32_16x16x16_bf16 v[52:55], a[114:115], a[82:83], v[52:55]// 000000004154: D3E10034 1CD2A572
	v_mfma_f32_16x16x16_bf16 v[52:55], a[116:117], a[84:85], v[52:55]// 00000000415C: D3E10034 1CD2A974
	v_mfma_f32_16x16x16_bf16 v[52:55], a[118:119], a[86:87], v[52:55]// 000000004164: D3E10034 1CD2AD76
	v_mfma_f32_16x16x16_bf16 v[56:59], a[112:113], a[88:89], v[56:59]// 00000000416C: D3E10038 1CE2B170
	v_mfma_f32_16x16x16_bf16 v[56:59], a[114:115], a[90:91], v[56:59]// 000000004174: D3E10038 1CE2B572
	v_mfma_f32_16x16x16_bf16 v[56:59], a[116:117], a[92:93], v[56:59]// 00000000417C: D3E10038 1CE2B974
	v_mfma_f32_16x16x16_bf16 v[56:59], a[118:119], a[94:95], v[56:59]// 000000004184: D3E10038 1CE2BD76
	s_addk_i32 s33, 0x40                                       // 00000000418C: B7210040
	s_cmp_lt_i32 s33, s34                                      // 000000004190: BF042221
	s_cbranch_scc0 label_0930                                  // 000000004194: BF84034A
	s_branch label_029E                                        // 000000004198: BF82FCB7

000000000000419c <label_05E7>:
	s_waitcnt vmcnt(14) lgkmcnt(0)                             // 00000000419C: BF8C007E
	s_barrier                                                  // 0000000041A0: BF8A0000
	v_mfma_f32_16x16x16_bf16 v[36:39], a[96:97], a[0:1], v[36:39]// 0000000041A4: D3E10024 1C920160
	s_add_u32 m0, 0, s46                                       // 0000000041AC: 807C2E80
	buffer_load_dword v19, s[4:7], 0 offen lds                 // 0000000041B0: E0511000 80010013
	ds_read_b128 a[48:51], v31 offset:12416                    // 0000000041B8: DBFE3080 3000001F
	ds_read_b128 a[52:55], v31 offset:12480                    // 0000000041C0: DBFE30C0 3400001F
	v_mfma_f32_16x16x16_bf16 v[36:39], a[98:99], a[2:3], v[36:39]// 0000000041C8: D3E10024 1C920562
	s_add_u32 m0, 0x100, s46                                   // 0000000041D0: 807C2EFF 00000100
	buffer_load_dword v20, s[4:7], 0 offen lds                 // 0000000041D8: E0511000 80010014
	v_mfma_f32_16x16x16_bf16 v[36:39], a[100:101], a[4:5], v[36:39]// 0000000041E0: D3E10024 1C920964
	s_add_u32 m0, 0x200, s46                                   // 0000000041E8: 807C2EFF 00000200
	buffer_load_dword v21, s[4:7], 0 offen lds                 // 0000000041F0: E0511000 80010015
	ds_read_b128 a[56:59], v31 offset:12928                    // 0000000041F8: DBFE3280 3800001F
	ds_read_b128 a[60:63], v31 offset:12992                    // 000000004200: DBFE32C0 3C00001F
	v_mfma_f32_16x16x16_bf16 v[36:39], a[102:103], a[6:7], v[36:39]// 000000004208: D3E10024 1C920D66
	s_add_u32 m0, 0x300, s46                                   // 000000004210: 807C2EFF 00000300
	buffer_load_dword v22, s[4:7], 0 offen lds                 // 000000004218: E0511000 80010016
	v_mfma_f32_16x16x16_bf16 v[40:43], a[96:97], a[8:9], v[40:43]// 000000004220: D3E10028 1CA21160
	s_add_u32 m0, 0x400, s46                                   // 000000004228: 807C2EFF 00000400
	buffer_load_dword v23, s[4:7], 0 offen lds                 // 000000004230: E0511000 80010017
	ds_read_b128 a[64:67], v31 offset:13440                    // 000000004238: DBFE3480 4000001F
	ds_read_b128 a[68:71], v31 offset:13504                    // 000000004240: DBFE34C0 4400001F
	v_mfma_f32_16x16x16_bf16 v[40:43], a[98:99], a[10:11], v[40:43]// 000000004248: D3E10028 1CA21562
	s_add_u32 m0, 0x500, s46                                   // 000000004250: 807C2EFF 00000500
	buffer_load_dword v24, s[4:7], 0 offen lds                 // 000000004258: E0511000 80010018
	v_mfma_f32_16x16x16_bf16 v[40:43], a[100:101], a[12:13], v[40:43]// 000000004260: D3E10028 1CA21964
	s_add_u32 m0, 0x600, s46                                   // 000000004268: 807C2EFF 00000600
	buffer_load_dword v25, s[4:7], 0 offen lds                 // 000000004270: E0511000 80010019
	ds_read_b128 a[72:75], v31 offset:13952                    // 000000004278: DBFE3680 4800001F
	ds_read_b128 a[76:79], v31 offset:14016                    // 000000004280: DBFE36C0 4C00001F
	v_mfma_f32_16x16x16_bf16 v[40:43], a[102:103], a[14:15], v[40:43]// 000000004288: D3E10028 1CA21D66
	s_add_u32 m0, 0x700, s46                                   // 000000004290: 807C2EFF 00000700
	buffer_load_dword v26, s[4:7], 0 offen lds                 // 000000004298: E0511000 8001001A
	v_mfma_f32_16x16x16_bf16 v[44:47], a[96:97], a[16:17], v[44:47]// 0000000042A0: D3E1002C 1CB22160
	s_add_u32 m0, 0x800, s46                                   // 0000000042A8: 807C2EFF 00000800
	buffer_load_dword v27, s[4:7], 0 offen lds                 // 0000000042B0: E0511000 8001001B
	ds_read_b128 a[80:83], v31 offset:14464                    // 0000000042B8: DBFE3880 5000001F
	ds_read_b128 a[84:87], v31 offset:14528                    // 0000000042C0: DBFE38C0 5400001F
	v_mfma_f32_16x16x16_bf16 v[44:47], a[98:99], a[18:19], v[44:47]// 0000000042C8: D3E1002C 1CB22562
	s_add_u32 m0, 0x900, s46                                   // 0000000042D0: 807C2EFF 00000900
	buffer_load_dword v28, s[4:7], 0 offen lds                 // 0000000042D8: E0511000 8001001C
	v_mfma_f32_16x16x16_bf16 v[44:47], a[100:101], a[20:21], v[44:47]// 0000000042E0: D3E1002C 1CB22964
	s_add_u32 m0, 0xa00, s46                                   // 0000000042E8: 807C2EFF 00000A00
	buffer_load_dword v29, s[4:7], 0 offen lds                 // 0000000042F0: E0511000 8001001D
	ds_read_b128 a[88:91], v31 offset:14976                    // 0000000042F8: DBFE3A80 5800001F
	ds_read_b128 a[92:95], v31 offset:15040                    // 000000004300: DBFE3AC0 5C00001F
	v_mfma_f32_16x16x16_bf16 v[44:47], a[102:103], a[22:23], v[44:47]// 000000004308: D3E1002C 1CB22D66
	s_add_u32 m0, 0xb00, s46                                   // 000000004310: 807C2EFF 00000B00
	buffer_load_dword v30, s[4:7], 0 offen lds                 // 000000004318: E0511000 8001001E
	v_mfma_f32_16x16x16_bf16 v[48:51], a[96:97], a[24:25], v[48:51]// 000000004320: D3E10030 1CC23160
	s_add_u32 s31, 0x100, s33                                  // 000000004328: 801F21FF 00000100
	s_cmp_lt_u32 s31, s34                                      // 000000004330: BF0A221F
	s_cselect_b32 s44, s44, 0                                  // 000000004334: 852C802C
	buffer_load_dwordx4 a[112:115], v32, s[8:11], 0 offen      // 000000004338: E05C1000 80827020
	s_add_u32 s4, s44, s4                                      // 000000004340: 8004042C
	s_addc_u32 s5, 0, s5                                       // 000000004344: 82050580
	v_mfma_f32_16x16x16_bf16 v[48:51], a[98:99], a[26:27], v[48:51]// 000000004348: D3E10030 1CC23562
	buffer_load_dwordx4 a[116:119], v33, s[8:11], 0 offen      // 000000004350: E05C1000 80827421
	v_mfma_f32_16x16x16_bf16 v[48:51], a[100:101], a[28:29], v[48:51]// 000000004358: D3E10030 1CC23964
	s_add_u32 s31, 0xc0, s33                                   // 000000004360: 801F21FF 000000C0
	s_cmp_lt_u32 s31, s34                                      // 000000004368: BF0A221F
	s_cselect_b32 s45, s45, 0                                  // 00000000436C: 852D802D
	s_add_u32 s8, s45, s8                                      // 000000004370: 8008082D
	s_addc_u32 s9, 0, s9                                       // 000000004374: 82090980
	v_mfma_f32_16x16x16_bf16 v[48:51], a[102:103], a[30:31], v[48:51]// 000000004378: D3E10030 1CC23D66
	v_mfma_f32_16x16x16_bf16 v[52:55], a[96:97], a[32:33], v[52:55]// 000000004380: D3E10034 1CD24160
	v_mfma_f32_16x16x16_bf16 v[52:55], a[98:99], a[34:35], v[52:55]// 000000004388: D3E10034 1CD24562
	v_mfma_f32_16x16x16_bf16 v[52:55], a[100:101], a[36:37], v[52:55]// 000000004390: D3E10034 1CD24964
	v_mfma_f32_16x16x16_bf16 v[52:55], a[102:103], a[38:39], v[52:55]// 000000004398: D3E10034 1CD24D66
	v_mfma_f32_16x16x16_bf16 v[56:59], a[96:97], a[40:41], v[56:59]// 0000000043A0: D3E10038 1CE25160
	v_mfma_f32_16x16x16_bf16 v[56:59], a[98:99], a[42:43], v[56:59]// 0000000043A8: D3E10038 1CE25562
	v_mfma_f32_16x16x16_bf16 v[56:59], a[100:101], a[44:45], v[56:59]// 0000000043B0: D3E10038 1CE25964
	v_mfma_f32_16x16x16_bf16 v[56:59], a[102:103], a[46:47], v[56:59]// 0000000043B8: D3E10038 1CE25D66
	s_addk_i32 s33, 0x40                                       // 0000000043C0: B7210040
	s_cmp_lt_i32 s33, s34                                      // 0000000043C4: BF042221
	s_cbranch_scc0 label_0930                                  // 0000000043C8: BF8402BD
	s_waitcnt vmcnt(14) lgkmcnt(0)                             // 0000000043CC: BF8C007E
	s_barrier                                                  // 0000000043D0: BF8A0000
	v_mfma_f32_16x16x16_bf16 v[36:39], a[104:105], a[48:49], v[36:39]// 0000000043D4: D3E10024 1C926168
	s_add_u32 m0, 0, s47                                       // 0000000043DC: 807C2F80
	buffer_load_dword v19, s[4:7], 0 offen lds                 // 0000000043E0: E0511000 80010013
	ds_read_b128 a[0:3], v31 offset:24832                      // 0000000043E8: DBFE6100 0000001F
	ds_read_b128 a[4:7], v31 offset:24896                      // 0000000043F0: DBFE6140 0400001F
	v_mfma_f32_16x16x16_bf16 v[36:39], a[106:107], a[50:51], v[36:39]// 0000000043F8: D3E10024 1C92656A
	s_add_u32 m0, 0x100, s47                                   // 000000004400: 807C2FFF 00000100
	buffer_load_dword v20, s[4:7], 0 offen lds                 // 000000004408: E0511000 80010014
	v_mfma_f32_16x16x16_bf16 v[36:39], a[108:109], a[52:53], v[36:39]// 000000004410: D3E10024 1C92696C
	s_add_u32 m0, 0x200, s47                                   // 000000004418: 807C2FFF 00000200
	buffer_load_dword v21, s[4:7], 0 offen lds                 // 000000004420: E0511000 80010015
	ds_read_b128 a[8:11], v31 offset:25344                     // 000000004428: DBFE6300 0800001F
	ds_read_b128 a[12:15], v31 offset:25408                    // 000000004430: DBFE6340 0C00001F
	v_mfma_f32_16x16x16_bf16 v[36:39], a[110:111], a[54:55], v[36:39]// 000000004438: D3E10024 1C926D6E
	s_add_u32 m0, 0x300, s47                                   // 000000004440: 807C2FFF 00000300
	buffer_load_dword v22, s[4:7], 0 offen lds                 // 000000004448: E0511000 80010016
	v_mfma_f32_16x16x16_bf16 v[40:43], a[104:105], a[56:57], v[40:43]// 000000004450: D3E10028 1CA27168
	s_add_u32 m0, 0x400, s47                                   // 000000004458: 807C2FFF 00000400
	buffer_load_dword v23, s[4:7], 0 offen lds                 // 000000004460: E0511000 80010017
	ds_read_b128 a[16:19], v31 offset:25856                    // 000000004468: DBFE6500 1000001F
	ds_read_b128 a[20:23], v31 offset:25920                    // 000000004470: DBFE6540 1400001F
	v_mfma_f32_16x16x16_bf16 v[40:43], a[106:107], a[58:59], v[40:43]// 000000004478: D3E10028 1CA2756A
	s_add_u32 m0, 0x500, s47                                   // 000000004480: 807C2FFF 00000500
	buffer_load_dword v24, s[4:7], 0 offen lds                 // 000000004488: E0511000 80010018
	v_mfma_f32_16x16x16_bf16 v[40:43], a[108:109], a[60:61], v[40:43]// 000000004490: D3E10028 1CA2796C
	s_add_u32 m0, 0x600, s47                                   // 000000004498: 807C2FFF 00000600
	buffer_load_dword v25, s[4:7], 0 offen lds                 // 0000000044A0: E0511000 80010019
	ds_read_b128 a[24:27], v31 offset:26368                    // 0000000044A8: DBFE6700 1800001F
	ds_read_b128 a[28:31], v31 offset:26432                    // 0000000044B0: DBFE6740 1C00001F
	v_mfma_f32_16x16x16_bf16 v[40:43], a[110:111], a[62:63], v[40:43]// 0000000044B8: D3E10028 1CA27D6E
	s_add_u32 m0, 0x700, s47                                   // 0000000044C0: 807C2FFF 00000700
	buffer_load_dword v26, s[4:7], 0 offen lds                 // 0000000044C8: E0511000 8001001A
	v_mfma_f32_16x16x16_bf16 v[44:47], a[104:105], a[64:65], v[44:47]// 0000000044D0: D3E1002C 1CB28168
	s_add_u32 m0, 0x800, s47                                   // 0000000044D8: 807C2FFF 00000800
	buffer_load_dword v27, s[4:7], 0 offen lds                 // 0000000044E0: E0511000 8001001B
	ds_read_b128 a[32:35], v31 offset:26880                    // 0000000044E8: DBFE6900 2000001F
	ds_read_b128 a[36:39], v31 offset:26944                    // 0000000044F0: DBFE6940 2400001F
	v_mfma_f32_16x16x16_bf16 v[44:47], a[106:107], a[66:67], v[44:47]// 0000000044F8: D3E1002C 1CB2856A
	s_add_u32 m0, 0x900, s47                                   // 000000004500: 807C2FFF 00000900
	buffer_load_dword v28, s[4:7], 0 offen lds                 // 000000004508: E0511000 8001001C
	v_mfma_f32_16x16x16_bf16 v[44:47], a[108:109], a[68:69], v[44:47]// 000000004510: D3E1002C 1CB2896C
	s_add_u32 m0, 0xa00, s47                                   // 000000004518: 807C2FFF 00000A00
	buffer_load_dword v29, s[4:7], 0 offen lds                 // 000000004520: E0511000 8001001D
	ds_read_b128 a[40:43], v31 offset:27392                    // 000000004528: DBFE6B00 2800001F
	ds_read_b128 a[44:47], v31 offset:27456                    // 000000004530: DBFE6B40 2C00001F
	v_mfma_f32_16x16x16_bf16 v[44:47], a[110:111], a[70:71], v[44:47]// 000000004538: D3E1002C 1CB28D6E
	s_add_u32 m0, 0xb00, s47                                   // 000000004540: 807C2FFF 00000B00
	buffer_load_dword v30, s[4:7], 0 offen lds                 // 000000004548: E0511000 8001001E
	v_mfma_f32_16x16x16_bf16 v[48:51], a[104:105], a[72:73], v[48:51]// 000000004550: D3E10030 1CC29168
	s_add_u32 s31, 0x100, s33                                  // 000000004558: 801F21FF 00000100
	s_cmp_lt_u32 s31, s34                                      // 000000004560: BF0A221F
	s_cselect_b32 s44, s44, 0                                  // 000000004564: 852C802C
	buffer_load_dwordx4 a[96:99], v32, s[8:11], 0 offen        // 000000004568: E05C1000 80826020
	s_add_u32 s4, s44, s4                                      // 000000004570: 8004042C
	s_addc_u32 s5, 0, s5                                       // 000000004574: 82050580
	v_mfma_f32_16x16x16_bf16 v[48:51], a[106:107], a[74:75], v[48:51]// 000000004578: D3E10030 1CC2956A
	buffer_load_dwordx4 a[100:103], v33, s[8:11], 0 offen      // 000000004580: E05C1000 80826421
	v_mfma_f32_16x16x16_bf16 v[48:51], a[108:109], a[76:77], v[48:51]// 000000004588: D3E10030 1CC2996C
	s_add_u32 s31, 0xc0, s33                                   // 000000004590: 801F21FF 000000C0
	s_cmp_lt_u32 s31, s34                                      // 000000004598: BF0A221F
	s_cselect_b32 s45, s45, 0                                  // 00000000459C: 852D802D
	s_add_u32 s8, s45, s8                                      // 0000000045A0: 8008082D
	s_addc_u32 s9, 0, s9                                       // 0000000045A4: 82090980
	v_mfma_f32_16x16x16_bf16 v[48:51], a[110:111], a[78:79], v[48:51]// 0000000045A8: D3E10030 1CC29D6E
	v_mfma_f32_16x16x16_bf16 v[52:55], a[104:105], a[80:81], v[52:55]// 0000000045B0: D3E10034 1CD2A168
	v_mfma_f32_16x16x16_bf16 v[52:55], a[106:107], a[82:83], v[52:55]// 0000000045B8: D3E10034 1CD2A56A
	v_mfma_f32_16x16x16_bf16 v[52:55], a[108:109], a[84:85], v[52:55]// 0000000045C0: D3E10034 1CD2A96C
	v_mfma_f32_16x16x16_bf16 v[52:55], a[110:111], a[86:87], v[52:55]// 0000000045C8: D3E10034 1CD2AD6E
	v_mfma_f32_16x16x16_bf16 v[56:59], a[104:105], a[88:89], v[56:59]// 0000000045D0: D3E10038 1CE2B168
	v_mfma_f32_16x16x16_bf16 v[56:59], a[106:107], a[90:91], v[56:59]// 0000000045D8: D3E10038 1CE2B56A
	v_mfma_f32_16x16x16_bf16 v[56:59], a[108:109], a[92:93], v[56:59]// 0000000045E0: D3E10038 1CE2B96C
	v_mfma_f32_16x16x16_bf16 v[56:59], a[110:111], a[94:95], v[56:59]// 0000000045E8: D3E10038 1CE2BD6E
	s_addk_i32 s33, 0x40                                       // 0000000045F0: B7210040
	s_cmp_lt_i32 s33, s34                                      // 0000000045F4: BF042221
	s_cbranch_scc0 label_0930                                  // 0000000045F8: BF840231
	s_waitcnt vmcnt(14) lgkmcnt(0)                             // 0000000045FC: BF8C007E
	s_barrier                                                  // 000000004600: BF8A0000
	v_mfma_f32_16x16x16_bf16 v[36:39], a[112:113], a[0:1], v[36:39]// 000000004604: D3E10024 1C920170
	s_add_u32 m0, 0, s48                                       // 00000000460C: 807C3080
	buffer_load_dword v19, s[4:7], 0 offen lds                 // 000000004610: E0511000 80010013
	ds_read_b128 a[48:51], v31                                 // 000000004618: DBFE0000 3000001F
	ds_read_b128 a[52:55], v31 offset:64                       // 000000004620: DBFE0040 3400001F
	v_mfma_f32_16x16x16_bf16 v[36:39], a[114:115], a[2:3], v[36:39]// 000000004628: D3E10024 1C920572
	s_add_u32 m0, 0x100, s48                                   // 000000004630: 807C30FF 00000100
	buffer_load_dword v20, s[4:7], 0 offen lds                 // 000000004638: E0511000 80010014
	v_mfma_f32_16x16x16_bf16 v[36:39], a[116:117], a[4:5], v[36:39]// 000000004640: D3E10024 1C920974
	s_add_u32 m0, 0x200, s48                                   // 000000004648: 807C30FF 00000200
	buffer_load_dword v21, s[4:7], 0 offen lds                 // 000000004650: E0511000 80010015
	ds_read_b128 a[56:59], v31 offset:512                      // 000000004658: DBFE0200 3800001F
	ds_read_b128 a[60:63], v31 offset:576                      // 000000004660: DBFE0240 3C00001F
	v_mfma_f32_16x16x16_bf16 v[36:39], a[118:119], a[6:7], v[36:39]// 000000004668: D3E10024 1C920D76
	s_add_u32 m0, 0x300, s48                                   // 000000004670: 807C30FF 00000300
	buffer_load_dword v22, s[4:7], 0 offen lds                 // 000000004678: E0511000 80010016
	v_mfma_f32_16x16x16_bf16 v[40:43], a[112:113], a[8:9], v[40:43]// 000000004680: D3E10028 1CA21170
	s_add_u32 m0, 0x400, s48                                   // 000000004688: 807C30FF 00000400
	buffer_load_dword v23, s[4:7], 0 offen lds                 // 000000004690: E0511000 80010017
	ds_read_b128 a[64:67], v31 offset:1024                     // 000000004698: DBFE0400 4000001F
	ds_read_b128 a[68:71], v31 offset:1088                     // 0000000046A0: DBFE0440 4400001F
	v_mfma_f32_16x16x16_bf16 v[40:43], a[114:115], a[10:11], v[40:43]// 0000000046A8: D3E10028 1CA21572
	s_add_u32 m0, 0x500, s48                                   // 0000000046B0: 807C30FF 00000500
	buffer_load_dword v24, s[4:7], 0 offen lds                 // 0000000046B8: E0511000 80010018
	v_mfma_f32_16x16x16_bf16 v[40:43], a[116:117], a[12:13], v[40:43]// 0000000046C0: D3E10028 1CA21974
	s_add_u32 m0, 0x600, s48                                   // 0000000046C8: 807C30FF 00000600
	buffer_load_dword v25, s[4:7], 0 offen lds                 // 0000000046D0: E0511000 80010019
	ds_read_b128 a[72:75], v31 offset:1536                     // 0000000046D8: DBFE0600 4800001F
	ds_read_b128 a[76:79], v31 offset:1600                     // 0000000046E0: DBFE0640 4C00001F
	v_mfma_f32_16x16x16_bf16 v[40:43], a[118:119], a[14:15], v[40:43]// 0000000046E8: D3E10028 1CA21D76
	s_add_u32 m0, 0x700, s48                                   // 0000000046F0: 807C30FF 00000700
	buffer_load_dword v26, s[4:7], 0 offen lds                 // 0000000046F8: E0511000 8001001A
	v_mfma_f32_16x16x16_bf16 v[44:47], a[112:113], a[16:17], v[44:47]// 000000004700: D3E1002C 1CB22170
	s_add_u32 m0, 0x800, s48                                   // 000000004708: 807C30FF 00000800
	buffer_load_dword v27, s[4:7], 0 offen lds                 // 000000004710: E0511000 8001001B
	ds_read_b128 a[80:83], v31 offset:2048                     // 000000004718: DBFE0800 5000001F
	ds_read_b128 a[84:87], v31 offset:2112                     // 000000004720: DBFE0840 5400001F
	v_mfma_f32_16x16x16_bf16 v[44:47], a[114:115], a[18:19], v[44:47]// 000000004728: D3E1002C 1CB22572
	s_add_u32 m0, 0x900, s48                                   // 000000004730: 807C30FF 00000900
	buffer_load_dword v28, s[4:7], 0 offen lds                 // 000000004738: E0511000 8001001C
	v_mfma_f32_16x16x16_bf16 v[44:47], a[116:117], a[20:21], v[44:47]// 000000004740: D3E1002C 1CB22974
	s_add_u32 m0, 0xa00, s48                                   // 000000004748: 807C30FF 00000A00
	buffer_load_dword v29, s[4:7], 0 offen lds                 // 000000004750: E0511000 8001001D
	ds_read_b128 a[88:91], v31 offset:2560                     // 000000004758: DBFE0A00 5800001F
	ds_read_b128 a[92:95], v31 offset:2624                     // 000000004760: DBFE0A40 5C00001F
	v_mfma_f32_16x16x16_bf16 v[44:47], a[118:119], a[22:23], v[44:47]// 000000004768: D3E1002C 1CB22D76
	s_add_u32 m0, 0xb00, s48                                   // 000000004770: 807C30FF 00000B00
	buffer_load_dword v30, s[4:7], 0 offen lds                 // 000000004778: E0511000 8001001E
	v_mfma_f32_16x16x16_bf16 v[48:51], a[112:113], a[24:25], v[48:51]// 000000004780: D3E10030 1CC23170
	s_add_u32 s31, 0x100, s33                                  // 000000004788: 801F21FF 00000100
	s_cmp_lt_u32 s31, s34                                      // 000000004790: BF0A221F
	s_cselect_b32 s44, s44, 0                                  // 000000004794: 852C802C
	buffer_load_dwordx4 a[104:107], v32, s[8:11], 0 offen      // 000000004798: E05C1000 80826820
	s_add_u32 s4, s44, s4                                      // 0000000047A0: 8004042C
	s_addc_u32 s5, 0, s5                                       // 0000000047A4: 82050580
	v_mfma_f32_16x16x16_bf16 v[48:51], a[114:115], a[26:27], v[48:51]// 0000000047A8: D3E10030 1CC23572
	buffer_load_dwordx4 a[108:111], v33, s[8:11], 0 offen      // 0000000047B0: E05C1000 80826C21
	v_mfma_f32_16x16x16_bf16 v[48:51], a[116:117], a[28:29], v[48:51]// 0000000047B8: D3E10030 1CC23974
	s_add_u32 s31, 0xc0, s33                                   // 0000000047C0: 801F21FF 000000C0
	s_cmp_lt_u32 s31, s34                                      // 0000000047C8: BF0A221F
	s_cselect_b32 s45, s45, 0                                  // 0000000047CC: 852D802D
	s_add_u32 s8, s45, s8                                      // 0000000047D0: 8008082D
	s_addc_u32 s9, 0, s9                                       // 0000000047D4: 82090980
	v_mfma_f32_16x16x16_bf16 v[48:51], a[118:119], a[30:31], v[48:51]// 0000000047D8: D3E10030 1CC23D76
	v_mfma_f32_16x16x16_bf16 v[52:55], a[112:113], a[32:33], v[52:55]// 0000000047E0: D3E10034 1CD24170
	v_mfma_f32_16x16x16_bf16 v[52:55], a[114:115], a[34:35], v[52:55]// 0000000047E8: D3E10034 1CD24572
	v_mfma_f32_16x16x16_bf16 v[52:55], a[116:117], a[36:37], v[52:55]// 0000000047F0: D3E10034 1CD24974
	v_mfma_f32_16x16x16_bf16 v[52:55], a[118:119], a[38:39], v[52:55]// 0000000047F8: D3E10034 1CD24D76
	v_mfma_f32_16x16x16_bf16 v[56:59], a[112:113], a[40:41], v[56:59]// 000000004800: D3E10038 1CE25170
	v_mfma_f32_16x16x16_bf16 v[56:59], a[114:115], a[42:43], v[56:59]// 000000004808: D3E10038 1CE25572
	v_mfma_f32_16x16x16_bf16 v[56:59], a[116:117], a[44:45], v[56:59]// 000000004810: D3E10038 1CE25974
	v_mfma_f32_16x16x16_bf16 v[56:59], a[118:119], a[46:47], v[56:59]// 000000004818: D3E10038 1CE25D76
	s_addk_i32 s33, 0x40                                       // 000000004820: B7210040
	s_cmp_lt_i32 s33, s34                                      // 000000004824: BF042221
	s_cbranch_scc0 label_0930                                  // 000000004828: BF8401A5
	s_waitcnt vmcnt(14) lgkmcnt(0)                             // 00000000482C: BF8C007E
	s_barrier                                                  // 000000004830: BF8A0000
	v_mfma_f32_16x16x16_bf16 v[36:39], a[96:97], a[48:49], v[36:39]// 000000004834: D3E10024 1C926160
	s_add_u32 m0, 0, s46                                       // 00000000483C: 807C2E80
	buffer_load_dword v19, s[4:7], 0 offen lds                 // 000000004840: E0511000 80010013
	ds_read_b128 a[0:3], v31 offset:12416                      // 000000004848: DBFE3080 0000001F
	ds_read_b128 a[4:7], v31 offset:12480                      // 000000004850: DBFE30C0 0400001F
	v_mfma_f32_16x16x16_bf16 v[36:39], a[98:99], a[50:51], v[36:39]// 000000004858: D3E10024 1C926562
	s_add_u32 m0, 0x100, s46                                   // 000000004860: 807C2EFF 00000100
	buffer_load_dword v20, s[4:7], 0 offen lds                 // 000000004868: E0511000 80010014
	v_mfma_f32_16x16x16_bf16 v[36:39], a[100:101], a[52:53], v[36:39]// 000000004870: D3E10024 1C926964
	s_add_u32 m0, 0x200, s46                                   // 000000004878: 807C2EFF 00000200
	buffer_load_dword v21, s[4:7], 0 offen lds                 // 000000004880: E0511000 80010015
	ds_read_b128 a[8:11], v31 offset:12928                     // 000000004888: DBFE3280 0800001F
	ds_read_b128 a[12:15], v31 offset:12992                    // 000000004890: DBFE32C0 0C00001F
	v_mfma_f32_16x16x16_bf16 v[36:39], a[102:103], a[54:55], v[36:39]// 000000004898: D3E10024 1C926D66
	s_add_u32 m0, 0x300, s46                                   // 0000000048A0: 807C2EFF 00000300
	buffer_load_dword v22, s[4:7], 0 offen lds                 // 0000000048A8: E0511000 80010016
	v_mfma_f32_16x16x16_bf16 v[40:43], a[96:97], a[56:57], v[40:43]// 0000000048B0: D3E10028 1CA27160
	s_add_u32 m0, 0x400, s46                                   // 0000000048B8: 807C2EFF 00000400
	buffer_load_dword v23, s[4:7], 0 offen lds                 // 0000000048C0: E0511000 80010017
	ds_read_b128 a[16:19], v31 offset:13440                    // 0000000048C8: DBFE3480 1000001F
	ds_read_b128 a[20:23], v31 offset:13504                    // 0000000048D0: DBFE34C0 1400001F
	v_mfma_f32_16x16x16_bf16 v[40:43], a[98:99], a[58:59], v[40:43]// 0000000048D8: D3E10028 1CA27562
	s_add_u32 m0, 0x500, s46                                   // 0000000048E0: 807C2EFF 00000500
	buffer_load_dword v24, s[4:7], 0 offen lds                 // 0000000048E8: E0511000 80010018
	v_mfma_f32_16x16x16_bf16 v[40:43], a[100:101], a[60:61], v[40:43]// 0000000048F0: D3E10028 1CA27964
	s_add_u32 m0, 0x600, s46                                   // 0000000048F8: 807C2EFF 00000600
	buffer_load_dword v25, s[4:7], 0 offen lds                 // 000000004900: E0511000 80010019
	ds_read_b128 a[24:27], v31 offset:13952                    // 000000004908: DBFE3680 1800001F
	ds_read_b128 a[28:31], v31 offset:14016                    // 000000004910: DBFE36C0 1C00001F
	v_mfma_f32_16x16x16_bf16 v[40:43], a[102:103], a[62:63], v[40:43]// 000000004918: D3E10028 1CA27D66
	s_add_u32 m0, 0x700, s46                                   // 000000004920: 807C2EFF 00000700
	buffer_load_dword v26, s[4:7], 0 offen lds                 // 000000004928: E0511000 8001001A
	v_mfma_f32_16x16x16_bf16 v[44:47], a[96:97], a[64:65], v[44:47]// 000000004930: D3E1002C 1CB28160
	s_add_u32 m0, 0x800, s46                                   // 000000004938: 807C2EFF 00000800
	buffer_load_dword v27, s[4:7], 0 offen lds                 // 000000004940: E0511000 8001001B
	ds_read_b128 a[32:35], v31 offset:14464                    // 000000004948: DBFE3880 2000001F
	ds_read_b128 a[36:39], v31 offset:14528                    // 000000004950: DBFE38C0 2400001F
	v_mfma_f32_16x16x16_bf16 v[44:47], a[98:99], a[66:67], v[44:47]// 000000004958: D3E1002C 1CB28562
	s_add_u32 m0, 0x900, s46                                   // 000000004960: 807C2EFF 00000900
	buffer_load_dword v28, s[4:7], 0 offen lds                 // 000000004968: E0511000 8001001C
	v_mfma_f32_16x16x16_bf16 v[44:47], a[100:101], a[68:69], v[44:47]// 000000004970: D3E1002C 1CB28964
	s_add_u32 m0, 0xa00, s46                                   // 000000004978: 807C2EFF 00000A00
	buffer_load_dword v29, s[4:7], 0 offen lds                 // 000000004980: E0511000 8001001D
	ds_read_b128 a[40:43], v31 offset:14976                    // 000000004988: DBFE3A80 2800001F
	ds_read_b128 a[44:47], v31 offset:15040                    // 000000004990: DBFE3AC0 2C00001F
	v_mfma_f32_16x16x16_bf16 v[44:47], a[102:103], a[70:71], v[44:47]// 000000004998: D3E1002C 1CB28D66
	s_add_u32 m0, 0xb00, s46                                   // 0000000049A0: 807C2EFF 00000B00
	buffer_load_dword v30, s[4:7], 0 offen lds                 // 0000000049A8: E0511000 8001001E
	v_mfma_f32_16x16x16_bf16 v[48:51], a[96:97], a[72:73], v[48:51]// 0000000049B0: D3E10030 1CC29160
	s_add_u32 s31, 0x100, s33                                  // 0000000049B8: 801F21FF 00000100
	s_cmp_lt_u32 s31, s34                                      // 0000000049C0: BF0A221F
	s_cselect_b32 s44, s44, 0                                  // 0000000049C4: 852C802C
	buffer_load_dwordx4 a[112:115], v32, s[8:11], 0 offen      // 0000000049C8: E05C1000 80827020
	s_add_u32 s4, s44, s4                                      // 0000000049D0: 8004042C
	s_addc_u32 s5, 0, s5                                       // 0000000049D4: 82050580
	v_mfma_f32_16x16x16_bf16 v[48:51], a[98:99], a[74:75], v[48:51]// 0000000049D8: D3E10030 1CC29562
	buffer_load_dwordx4 a[116:119], v33, s[8:11], 0 offen      // 0000000049E0: E05C1000 80827421
	v_mfma_f32_16x16x16_bf16 v[48:51], a[100:101], a[76:77], v[48:51]// 0000000049E8: D3E10030 1CC29964
	s_add_u32 s31, 0xc0, s33                                   // 0000000049F0: 801F21FF 000000C0
	s_cmp_lt_u32 s31, s34                                      // 0000000049F8: BF0A221F
	s_cselect_b32 s45, s45, 0                                  // 0000000049FC: 852D802D
	s_add_u32 s8, s45, s8                                      // 000000004A00: 8008082D
	s_addc_u32 s9, 0, s9                                       // 000000004A04: 82090980
	v_mfma_f32_16x16x16_bf16 v[48:51], a[102:103], a[78:79], v[48:51]// 000000004A08: D3E10030 1CC29D66
	v_mfma_f32_16x16x16_bf16 v[52:55], a[96:97], a[80:81], v[52:55]// 000000004A10: D3E10034 1CD2A160
	v_mfma_f32_16x16x16_bf16 v[52:55], a[98:99], a[82:83], v[52:55]// 000000004A18: D3E10034 1CD2A562
	v_mfma_f32_16x16x16_bf16 v[52:55], a[100:101], a[84:85], v[52:55]// 000000004A20: D3E10034 1CD2A964
	v_mfma_f32_16x16x16_bf16 v[52:55], a[102:103], a[86:87], v[52:55]// 000000004A28: D3E10034 1CD2AD66
	v_mfma_f32_16x16x16_bf16 v[56:59], a[96:97], a[88:89], v[56:59]// 000000004A30: D3E10038 1CE2B160
	v_mfma_f32_16x16x16_bf16 v[56:59], a[98:99], a[90:91], v[56:59]// 000000004A38: D3E10038 1CE2B562
	v_mfma_f32_16x16x16_bf16 v[56:59], a[100:101], a[92:93], v[56:59]// 000000004A40: D3E10038 1CE2B964
	v_mfma_f32_16x16x16_bf16 v[56:59], a[102:103], a[94:95], v[56:59]// 000000004A48: D3E10038 1CE2BD66
	s_addk_i32 s33, 0x40                                       // 000000004A50: B7210040
	s_cmp_lt_i32 s33, s34                                      // 000000004A54: BF042221
	s_cbranch_scc0 label_0930                                  // 000000004A58: BF840119
	s_waitcnt vmcnt(14) lgkmcnt(0)                             // 000000004A5C: BF8C007E
	s_barrier                                                  // 000000004A60: BF8A0000
	v_mfma_f32_16x16x16_bf16 v[36:39], a[104:105], a[0:1], v[36:39]// 000000004A64: D3E10024 1C920168
	s_add_u32 m0, 0, s47                                       // 000000004A6C: 807C2F80
	buffer_load_dword v19, s[4:7], 0 offen lds                 // 000000004A70: E0511000 80010013
	ds_read_b128 a[48:51], v31 offset:24832                    // 000000004A78: DBFE6100 3000001F
	ds_read_b128 a[52:55], v31 offset:24896                    // 000000004A80: DBFE6140 3400001F
	v_mfma_f32_16x16x16_bf16 v[36:39], a[106:107], a[2:3], v[36:39]// 000000004A88: D3E10024 1C92056A
	s_add_u32 m0, 0x100, s47                                   // 000000004A90: 807C2FFF 00000100
	buffer_load_dword v20, s[4:7], 0 offen lds                 // 000000004A98: E0511000 80010014
	v_mfma_f32_16x16x16_bf16 v[36:39], a[108:109], a[4:5], v[36:39]// 000000004AA0: D3E10024 1C92096C
	s_add_u32 m0, 0x200, s47                                   // 000000004AA8: 807C2FFF 00000200
	buffer_load_dword v21, s[4:7], 0 offen lds                 // 000000004AB0: E0511000 80010015
	ds_read_b128 a[56:59], v31 offset:25344                    // 000000004AB8: DBFE6300 3800001F
	ds_read_b128 a[60:63], v31 offset:25408                    // 000000004AC0: DBFE6340 3C00001F
	v_mfma_f32_16x16x16_bf16 v[36:39], a[110:111], a[6:7], v[36:39]// 000000004AC8: D3E10024 1C920D6E
	s_add_u32 m0, 0x300, s47                                   // 000000004AD0: 807C2FFF 00000300
	buffer_load_dword v22, s[4:7], 0 offen lds                 // 000000004AD8: E0511000 80010016
	v_mfma_f32_16x16x16_bf16 v[40:43], a[104:105], a[8:9], v[40:43]// 000000004AE0: D3E10028 1CA21168
	s_add_u32 m0, 0x400, s47                                   // 000000004AE8: 807C2FFF 00000400
	buffer_load_dword v23, s[4:7], 0 offen lds                 // 000000004AF0: E0511000 80010017
	ds_read_b128 a[64:67], v31 offset:25856                    // 000000004AF8: DBFE6500 4000001F
	ds_read_b128 a[68:71], v31 offset:25920                    // 000000004B00: DBFE6540 4400001F
	v_mfma_f32_16x16x16_bf16 v[40:43], a[106:107], a[10:11], v[40:43]// 000000004B08: D3E10028 1CA2156A
	s_add_u32 m0, 0x500, s47                                   // 000000004B10: 807C2FFF 00000500
	buffer_load_dword v24, s[4:7], 0 offen lds                 // 000000004B18: E0511000 80010018
	v_mfma_f32_16x16x16_bf16 v[40:43], a[108:109], a[12:13], v[40:43]// 000000004B20: D3E10028 1CA2196C
	s_add_u32 m0, 0x600, s47                                   // 000000004B28: 807C2FFF 00000600
	buffer_load_dword v25, s[4:7], 0 offen lds                 // 000000004B30: E0511000 80010019
	ds_read_b128 a[72:75], v31 offset:26368                    // 000000004B38: DBFE6700 4800001F
	ds_read_b128 a[76:79], v31 offset:26432                    // 000000004B40: DBFE6740 4C00001F
	v_mfma_f32_16x16x16_bf16 v[40:43], a[110:111], a[14:15], v[40:43]// 000000004B48: D3E10028 1CA21D6E
	s_add_u32 m0, 0x700, s47                                   // 000000004B50: 807C2FFF 00000700
	buffer_load_dword v26, s[4:7], 0 offen lds                 // 000000004B58: E0511000 8001001A
	v_mfma_f32_16x16x16_bf16 v[44:47], a[104:105], a[16:17], v[44:47]// 000000004B60: D3E1002C 1CB22168
	s_add_u32 m0, 0x800, s47                                   // 000000004B68: 807C2FFF 00000800
	buffer_load_dword v27, s[4:7], 0 offen lds                 // 000000004B70: E0511000 8001001B
	ds_read_b128 a[80:83], v31 offset:26880                    // 000000004B78: DBFE6900 5000001F
	ds_read_b128 a[84:87], v31 offset:26944                    // 000000004B80: DBFE6940 5400001F
	v_mfma_f32_16x16x16_bf16 v[44:47], a[106:107], a[18:19], v[44:47]// 000000004B88: D3E1002C 1CB2256A
	s_add_u32 m0, 0x900, s47                                   // 000000004B90: 807C2FFF 00000900
	buffer_load_dword v28, s[4:7], 0 offen lds                 // 000000004B98: E0511000 8001001C
	v_mfma_f32_16x16x16_bf16 v[44:47], a[108:109], a[20:21], v[44:47]// 000000004BA0: D3E1002C 1CB2296C
	s_add_u32 m0, 0xa00, s47                                   // 000000004BA8: 807C2FFF 00000A00
	buffer_load_dword v29, s[4:7], 0 offen lds                 // 000000004BB0: E0511000 8001001D
	ds_read_b128 a[88:91], v31 offset:27392                    // 000000004BB8: DBFE6B00 5800001F
	ds_read_b128 a[92:95], v31 offset:27456                    // 000000004BC0: DBFE6B40 5C00001F
	v_mfma_f32_16x16x16_bf16 v[44:47], a[110:111], a[22:23], v[44:47]// 000000004BC8: D3E1002C 1CB22D6E
	s_add_u32 m0, 0xb00, s47                                   // 000000004BD0: 807C2FFF 00000B00
	buffer_load_dword v30, s[4:7], 0 offen lds                 // 000000004BD8: E0511000 8001001E
	v_mfma_f32_16x16x16_bf16 v[48:51], a[104:105], a[24:25], v[48:51]// 000000004BE0: D3E10030 1CC23168
	s_add_u32 s31, 0x100, s33                                  // 000000004BE8: 801F21FF 00000100
	s_cmp_lt_u32 s31, s34                                      // 000000004BF0: BF0A221F
	s_cselect_b32 s44, s44, 0                                  // 000000004BF4: 852C802C
	buffer_load_dwordx4 a[96:99], v32, s[8:11], 0 offen        // 000000004BF8: E05C1000 80826020
	s_add_u32 s4, s44, s4                                      // 000000004C00: 8004042C
	s_addc_u32 s5, 0, s5                                       // 000000004C04: 82050580
	v_mfma_f32_16x16x16_bf16 v[48:51], a[106:107], a[26:27], v[48:51]// 000000004C08: D3E10030 1CC2356A
	buffer_load_dwordx4 a[100:103], v33, s[8:11], 0 offen      // 000000004C10: E05C1000 80826421
	v_mfma_f32_16x16x16_bf16 v[48:51], a[108:109], a[28:29], v[48:51]// 000000004C18: D3E10030 1CC2396C
	s_add_u32 s31, 0xc0, s33                                   // 000000004C20: 801F21FF 000000C0
	s_cmp_lt_u32 s31, s34                                      // 000000004C28: BF0A221F
	s_cselect_b32 s45, s45, 0                                  // 000000004C2C: 852D802D
	s_add_u32 s8, s45, s8                                      // 000000004C30: 8008082D
	s_addc_u32 s9, 0, s9                                       // 000000004C34: 82090980
	v_mfma_f32_16x16x16_bf16 v[48:51], a[110:111], a[30:31], v[48:51]// 000000004C38: D3E10030 1CC23D6E
	v_mfma_f32_16x16x16_bf16 v[52:55], a[104:105], a[32:33], v[52:55]// 000000004C40: D3E10034 1CD24168
	v_mfma_f32_16x16x16_bf16 v[52:55], a[106:107], a[34:35], v[52:55]// 000000004C48: D3E10034 1CD2456A
	v_mfma_f32_16x16x16_bf16 v[52:55], a[108:109], a[36:37], v[52:55]// 000000004C50: D3E10034 1CD2496C
	v_mfma_f32_16x16x16_bf16 v[52:55], a[110:111], a[38:39], v[52:55]// 000000004C58: D3E10034 1CD24D6E
	v_mfma_f32_16x16x16_bf16 v[56:59], a[104:105], a[40:41], v[56:59]// 000000004C60: D3E10038 1CE25168
	v_mfma_f32_16x16x16_bf16 v[56:59], a[106:107], a[42:43], v[56:59]// 000000004C68: D3E10038 1CE2556A
	v_mfma_f32_16x16x16_bf16 v[56:59], a[108:109], a[44:45], v[56:59]// 000000004C70: D3E10038 1CE2596C
	v_mfma_f32_16x16x16_bf16 v[56:59], a[110:111], a[46:47], v[56:59]// 000000004C78: D3E10038 1CE25D6E
	s_addk_i32 s33, 0x40                                       // 000000004C80: B7210040
	s_cmp_lt_i32 s33, s34                                      // 000000004C84: BF042221
	s_cbranch_scc0 label_0930                                  // 000000004C88: BF84008D
	s_waitcnt vmcnt(14) lgkmcnt(0)                             // 000000004C8C: BF8C007E
	s_barrier                                                  // 000000004C90: BF8A0000
	v_mfma_f32_16x16x16_bf16 v[36:39], a[112:113], a[48:49], v[36:39]// 000000004C94: D3E10024 1C926170
	s_add_u32 m0, 0, s48                                       // 000000004C9C: 807C3080
	buffer_load_dword v19, s[4:7], 0 offen lds                 // 000000004CA0: E0511000 80010013
	ds_read_b128 a[0:3], v31                                   // 000000004CA8: DBFE0000 0000001F
	ds_read_b128 a[4:7], v31 offset:64                         // 000000004CB0: DBFE0040 0400001F
	v_mfma_f32_16x16x16_bf16 v[36:39], a[114:115], a[50:51], v[36:39]// 000000004CB8: D3E10024 1C926572
	s_add_u32 m0, 0x100, s48                                   // 000000004CC0: 807C30FF 00000100
	buffer_load_dword v20, s[4:7], 0 offen lds                 // 000000004CC8: E0511000 80010014
	v_mfma_f32_16x16x16_bf16 v[36:39], a[116:117], a[52:53], v[36:39]// 000000004CD0: D3E10024 1C926974
	s_add_u32 m0, 0x200, s48                                   // 000000004CD8: 807C30FF 00000200
	buffer_load_dword v21, s[4:7], 0 offen lds                 // 000000004CE0: E0511000 80010015
	ds_read_b128 a[8:11], v31 offset:512                       // 000000004CE8: DBFE0200 0800001F
	ds_read_b128 a[12:15], v31 offset:576                      // 000000004CF0: DBFE0240 0C00001F
	v_mfma_f32_16x16x16_bf16 v[36:39], a[118:119], a[54:55], v[36:39]// 000000004CF8: D3E10024 1C926D76
	s_add_u32 m0, 0x300, s48                                   // 000000004D00: 807C30FF 00000300
	buffer_load_dword v22, s[4:7], 0 offen lds                 // 000000004D08: E0511000 80010016
	v_mfma_f32_16x16x16_bf16 v[40:43], a[112:113], a[56:57], v[40:43]// 000000004D10: D3E10028 1CA27170
	s_add_u32 m0, 0x400, s48                                   // 000000004D18: 807C30FF 00000400
	buffer_load_dword v23, s[4:7], 0 offen lds                 // 000000004D20: E0511000 80010017
	ds_read_b128 a[16:19], v31 offset:1024                     // 000000004D28: DBFE0400 1000001F
	ds_read_b128 a[20:23], v31 offset:1088                     // 000000004D30: DBFE0440 1400001F
	v_mfma_f32_16x16x16_bf16 v[40:43], a[114:115], a[58:59], v[40:43]// 000000004D38: D3E10028 1CA27572
	s_add_u32 m0, 0x500, s48                                   // 000000004D40: 807C30FF 00000500
	buffer_load_dword v24, s[4:7], 0 offen lds                 // 000000004D48: E0511000 80010018
	v_mfma_f32_16x16x16_bf16 v[40:43], a[116:117], a[60:61], v[40:43]// 000000004D50: D3E10028 1CA27974
	s_add_u32 m0, 0x600, s48                                   // 000000004D58: 807C30FF 00000600
	buffer_load_dword v25, s[4:7], 0 offen lds                 // 000000004D60: E0511000 80010019
	ds_read_b128 a[24:27], v31 offset:1536                     // 000000004D68: DBFE0600 1800001F
	ds_read_b128 a[28:31], v31 offset:1600                     // 000000004D70: DBFE0640 1C00001F
	v_mfma_f32_16x16x16_bf16 v[40:43], a[118:119], a[62:63], v[40:43]// 000000004D78: D3E10028 1CA27D76
	s_add_u32 m0, 0x700, s48                                   // 000000004D80: 807C30FF 00000700
	buffer_load_dword v26, s[4:7], 0 offen lds                 // 000000004D88: E0511000 8001001A
	v_mfma_f32_16x16x16_bf16 v[44:47], a[112:113], a[64:65], v[44:47]// 000000004D90: D3E1002C 1CB28170
	s_add_u32 m0, 0x800, s48                                   // 000000004D98: 807C30FF 00000800
	buffer_load_dword v27, s[4:7], 0 offen lds                 // 000000004DA0: E0511000 8001001B
	ds_read_b128 a[32:35], v31 offset:2048                     // 000000004DA8: DBFE0800 2000001F
	ds_read_b128 a[36:39], v31 offset:2112                     // 000000004DB0: DBFE0840 2400001F
	v_mfma_f32_16x16x16_bf16 v[44:47], a[114:115], a[66:67], v[44:47]// 000000004DB8: D3E1002C 1CB28572
	s_add_u32 m0, 0x900, s48                                   // 000000004DC0: 807C30FF 00000900
	buffer_load_dword v28, s[4:7], 0 offen lds                 // 000000004DC8: E0511000 8001001C
	v_mfma_f32_16x16x16_bf16 v[44:47], a[116:117], a[68:69], v[44:47]// 000000004DD0: D3E1002C 1CB28974
	s_add_u32 m0, 0xa00, s48                                   // 000000004DD8: 807C30FF 00000A00
	buffer_load_dword v29, s[4:7], 0 offen lds                 // 000000004DE0: E0511000 8001001D
	ds_read_b128 a[40:43], v31 offset:2560                     // 000000004DE8: DBFE0A00 2800001F
	ds_read_b128 a[44:47], v31 offset:2624                     // 000000004DF0: DBFE0A40 2C00001F
	v_mfma_f32_16x16x16_bf16 v[44:47], a[118:119], a[70:71], v[44:47]// 000000004DF8: D3E1002C 1CB28D76
	s_add_u32 m0, 0xb00, s48                                   // 000000004E00: 807C30FF 00000B00
	buffer_load_dword v30, s[4:7], 0 offen lds                 // 000000004E08: E0511000 8001001E
	v_mfma_f32_16x16x16_bf16 v[48:51], a[112:113], a[72:73], v[48:51]// 000000004E10: D3E10030 1CC29170
	s_add_u32 s31, 0x100, s33                                  // 000000004E18: 801F21FF 00000100
	s_cmp_lt_u32 s31, s34                                      // 000000004E20: BF0A221F
	s_cselect_b32 s44, s44, 0                                  // 000000004E24: 852C802C
	buffer_load_dwordx4 a[104:107], v32, s[8:11], 0 offen      // 000000004E28: E05C1000 80826820
	s_add_u32 s4, s44, s4                                      // 000000004E30: 8004042C
	s_addc_u32 s5, 0, s5                                       // 000000004E34: 82050580
	v_mfma_f32_16x16x16_bf16 v[48:51], a[114:115], a[74:75], v[48:51]// 000000004E38: D3E10030 1CC29572
	buffer_load_dwordx4 a[108:111], v33, s[8:11], 0 offen      // 000000004E40: E05C1000 80826C21
	v_mfma_f32_16x16x16_bf16 v[48:51], a[116:117], a[76:77], v[48:51]// 000000004E48: D3E10030 1CC29974
	s_add_u32 s31, 0xc0, s33                                   // 000000004E50: 801F21FF 000000C0
	s_cmp_lt_u32 s31, s34                                      // 000000004E58: BF0A221F
	s_cselect_b32 s45, s45, 0                                  // 000000004E5C: 852D802D
	s_add_u32 s8, s45, s8                                      // 000000004E60: 8008082D
	s_addc_u32 s9, 0, s9                                       // 000000004E64: 82090980
	v_mfma_f32_16x16x16_bf16 v[48:51], a[118:119], a[78:79], v[48:51]// 000000004E68: D3E10030 1CC29D76
	v_mfma_f32_16x16x16_bf16 v[52:55], a[112:113], a[80:81], v[52:55]// 000000004E70: D3E10034 1CD2A170
	v_mfma_f32_16x16x16_bf16 v[52:55], a[114:115], a[82:83], v[52:55]// 000000004E78: D3E10034 1CD2A572
	v_mfma_f32_16x16x16_bf16 v[52:55], a[116:117], a[84:85], v[52:55]// 000000004E80: D3E10034 1CD2A974
	v_mfma_f32_16x16x16_bf16 v[52:55], a[118:119], a[86:87], v[52:55]// 000000004E88: D3E10034 1CD2AD76
	v_mfma_f32_16x16x16_bf16 v[56:59], a[112:113], a[88:89], v[56:59]// 000000004E90: D3E10038 1CE2B170
	v_mfma_f32_16x16x16_bf16 v[56:59], a[114:115], a[90:91], v[56:59]// 000000004E98: D3E10038 1CE2B572
	v_mfma_f32_16x16x16_bf16 v[56:59], a[116:117], a[92:93], v[56:59]// 000000004EA0: D3E10038 1CE2B974
	v_mfma_f32_16x16x16_bf16 v[56:59], a[118:119], a[94:95], v[56:59]// 000000004EA8: D3E10038 1CE2BD76
	s_addk_i32 s33, 0x40                                       // 000000004EB0: B7210040
	s_cmp_lt_i32 s33, s34                                      // 000000004EB4: BF042221
	s_cbranch_scc0 label_0930                                  // 000000004EB8: BF840001
	s_branch label_05E7                                        // 000000004EBC: BF82FCB7

0000000000004ec0 <label_0930>:
	s_cmp_le_u32 s52, 1                                        // 000000004EC0: BF0B8134
	s_cbranch_scc1 label_0E38                                  // 000000004EC4: BF850506
	s_mov_b32 s31, 0x60                                        // 000000004EC8: BE9F00FF 00000060
	s_cmp_lt_u32 s55, s31                                      // 000000004ED0: BF0A1F37
	s_cbranch_scc1 label_0B27                                  // 000000004ED4: BF8501F1
	v_mov_b32_e32 v5, 0                                        // 000000004ED8: 7E0A0280
	s_and_b32 s17, s17, 0xffff                                 // 000000004EDC: 8611FF11 0000FFFF
	s_cmp_lt_u32 s54, 1                                        // 000000004EE4: BF0A8136
	s_cbranch_scc0 label_0A00                                  // 000000004EE8: BF8400C5
	v_lshrrev_b32_e32 v4, 4, v0                                // 000000004EEC: 20080084
	v_mul_u32_u24_e32 v31, 0x44, v4                            // 000000004EF0: 103E08FF 00000044
	v_and_b32_e32 v4, 15, v0                                   // 000000004EF8: 2608008F
	v_mul_lo_u32 v5, 4, v4                                     // 000000004EFC: D2850005 00020884
	v_add_u32_e32 v31, v5, v31                                 // 000000004F04: 683E3F05
	s_mul_i32 s31, s24, 0x110                                  // 000000004F08: 921FFF18 00000110
	v_add_u32_e32 v31, s31, v31                                // 000000004F10: 683E3E1F
	v_lshlrev_b32_e32 v31, 2, v31                              // 000000004F14: 243E3E82
	v_lshrrev_b32_e32 v4, 2, v0                                // 000000004F18: 20080082
	v_mul_u32_u24_e32 v34, 0x44, v4                            // 000000004F1C: 104408FF 00000044
	v_and_b32_e32 v4, 3, v0                                    // 000000004F24: 26080083
	v_add_u32_e32 v34, v4, v34                                 // 000000004F28: 68444504
	s_mul_i32 s31, s24, 4                                      // 000000004F2C: 921F8418
	v_add_u32_e32 v34, s31, v34                                // 000000004F30: 6844441F
	v_lshlrev_b32_e32 v34, 2, v34                              // 000000004F34: 24444482
	s_waitcnt vmcnt(0) expcnt(0) lgkmcnt(0)                    // 000000004F38: BF8C0000
	s_barrier                                                  // 000000004F3C: BF8A0000
	ds_write_b128 v31, v[36:39]                                // 000000004F40: D9BE0000 0000241F
	ds_write_b128 v31, v[40:43] offset:4352                    // 000000004F48: D9BE1100 0000281F
	ds_write_b128 v31, v[44:47] offset:8704                    // 000000004F50: D9BE2200 00002C1F
	ds_write_b128 v31, v[48:51] offset:13056                   // 000000004F58: D9BE3300 0000301F
	ds_write_b128 v31, v[52:55] offset:17408                   // 000000004F60: D9BE4400 0000341F
	ds_write_b128 v31, v[56:59] offset:21760                   // 000000004F68: D9BE5500 0000381F
	s_waitcnt lgkmcnt(0)                                       // 000000004F70: BF8CC07F
	s_barrier                                                  // 000000004F74: BF8A0000
	ds_read_b32 v36, v34                                       // 000000004F78: D86C0000 24000022
	ds_read_b32 v37, v34 offset:64                             // 000000004F80: D86C0040 25000022
	ds_read_b32 v38, v34 offset:128                            // 000000004F88: D86C0080 26000022
	ds_read_b32 v39, v34 offset:192                            // 000000004F90: D86C00C0 27000022
	ds_read_b32 v40, v34 offset:4352                           // 000000004F98: D86C1100 28000022
	ds_read_b32 v41, v34 offset:4416                           // 000000004FA0: D86C1140 29000022
	ds_read_b32 v42, v34 offset:4480                           // 000000004FA8: D86C1180 2A000022
	ds_read_b32 v43, v34 offset:4544                           // 000000004FB0: D86C11C0 2B000022
	ds_read_b32 v44, v34 offset:8704                           // 000000004FB8: D86C2200 2C000022
	ds_read_b32 v45, v34 offset:8768                           // 000000004FC0: D86C2240 2D000022
	ds_read_b32 v46, v34 offset:8832                           // 000000004FC8: D86C2280 2E000022
	ds_read_b32 v47, v34 offset:8896                           // 000000004FD0: D86C22C0 2F000022
	ds_read_b32 v48, v34 offset:13056                          // 000000004FD8: D86C3300 30000022
	ds_read_b32 v49, v34 offset:13120                          // 000000004FE0: D86C3340 31000022
	ds_read_b32 v50, v34 offset:13184                          // 000000004FE8: D86C3380 32000022
	ds_read_b32 v51, v34 offset:13248                          // 000000004FF0: D86C33C0 33000022
	ds_read_b32 v52, v34 offset:17408                          // 000000004FF8: D86C4400 34000022
	ds_read_b32 v53, v34 offset:17472                          // 000000005000: D86C4440 35000022
	ds_read_b32 v54, v34 offset:17536                          // 000000005008: D86C4480 36000022
	ds_read_b32 v55, v34 offset:17600                          // 000000005010: D86C44C0 37000022
	ds_read_b32 v56, v34 offset:21760                          // 000000005018: D86C5500 38000022
	ds_read_b32 v57, v34 offset:21824                          // 000000005020: D86C5540 39000022
	ds_read_b32 v58, v34 offset:21888                          // 000000005028: D86C5580 3A000022
	ds_read_b32 v59, v34 offset:21952                          // 000000005030: D86C55C0 3B000022
	s_waitcnt lgkmcnt(0)                                       // 000000005038: BF8CC07F
	s_cmp_eq_u32 s24, 0                                        // 00000000503C: BF068018
	s_cbranch_scc0 label_0997                                  // 000000005040: BF840006
	s_mov_b32 s31, 0                                           // 000000005044: BE9F0080

0000000000005048 <label_0992>:
	s_load_dword s32, s[40:41], s62 glc                        // 000000005048: C0010814 0000003E
	s_waitcnt lgkmcnt(0)                                       // 000000005050: BF8CC07F
	s_cmp_gt_u32 s32, s31                                      // 000000005054: BF081F20
	s_cbranch_scc0 label_0992                                  // 000000005058: BF84FFFB

000000000000505c <label_0997>:
	s_barrier                                                  // 00000000505C: BF8A0000
	s_mul_i32 s31, s30, 4                                      // 000000005060: 921F841E
	v_mov_b32_e32 v4, v18                                      // 000000005064: 7E080312
	global_atomic_add_f32 v4, v36, s[16:17]                    // 000000005068: DD348000 00102404
	v_add_u32_e64 v4, v4, s31                                  // 000000005070: D1340004 00003F04
	global_atomic_add_f32 v4, v37, s[16:17]                    // 000000005078: DD348000 00102504
	v_add_u32_e64 v4, v4, s31                                  // 000000005080: D1340004 00003F04
	global_atomic_add_f32 v4, v38, s[16:17]                    // 000000005088: DD348000 00102604
	v_add_u32_e64 v4, v4, s31                                  // 000000005090: D1340004 00003F04
	global_atomic_add_f32 v4, v39, s[16:17]                    // 000000005098: DD348000 00102704
	v_add_u32_e64 v4, v4, s31                                  // 0000000050A0: D1340004 00003F04
	global_atomic_add_f32 v4, v40, s[16:17]                    // 0000000050A8: DD348000 00102804
	v_add_u32_e64 v4, v4, s31                                  // 0000000050B0: D1340004 00003F04
	global_atomic_add_f32 v4, v41, s[16:17]                    // 0000000050B8: DD348000 00102904
	v_add_u32_e64 v4, v4, s31                                  // 0000000050C0: D1340004 00003F04
	global_atomic_add_f32 v4, v42, s[16:17]                    // 0000000050C8: DD348000 00102A04
	v_add_u32_e64 v4, v4, s31                                  // 0000000050D0: D1340004 00003F04
	global_atomic_add_f32 v4, v43, s[16:17]                    // 0000000050D8: DD348000 00102B04
	v_add_u32_e64 v4, v4, s31                                  // 0000000050E0: D1340004 00003F04
	global_atomic_add_f32 v4, v44, s[16:17]                    // 0000000050E8: DD348000 00102C04
	v_add_u32_e64 v4, v4, s31                                  // 0000000050F0: D1340004 00003F04
	global_atomic_add_f32 v4, v45, s[16:17]                    // 0000000050F8: DD348000 00102D04
	v_add_u32_e64 v4, v4, s31                                  // 000000005100: D1340004 00003F04
	global_atomic_add_f32 v4, v46, s[16:17]                    // 000000005108: DD348000 00102E04
	v_add_u32_e64 v4, v4, s31                                  // 000000005110: D1340004 00003F04
	global_atomic_add_f32 v4, v47, s[16:17]                    // 000000005118: DD348000 00102F04
	v_add_u32_e64 v4, v4, s31                                  // 000000005120: D1340004 00003F04
	global_atomic_add_f32 v4, v48, s[16:17]                    // 000000005128: DD348000 00103004
	v_add_u32_e64 v4, v4, s31                                  // 000000005130: D1340004 00003F04
	global_atomic_add_f32 v4, v49, s[16:17]                    // 000000005138: DD348000 00103104
	;; [unrolled: 2-line block ×8, first 2 shown]
	v_add_u32_e64 v4, v4, s31                                  // 0000000051A0: D1340004 00003F04
	global_atomic_add_f32 v4, v56, s[16:17]                    // 0000000051A8: DD348000 00103804
	v_add_u32_e64 v4, v4, s31                                  // 0000000051B0: D1340004 00003F04
	global_atomic_add_f32 v4, v57, s[16:17]                    // 0000000051B8: DD348000 00103904
	v_add_u32_e64 v4, v4, s31                                  // 0000000051C0: D1340004 00003F04
	global_atomic_add_f32 v4, v58, s[16:17]                    // 0000000051C8: DD348000 00103A04
	v_add_u32_e64 v4, v4, s31                                  // 0000000051D0: D1340004 00003F04
	global_atomic_add_f32 v4, v59, s[16:17]                    // 0000000051D8: DD348000 00103B04
	v_add_u32_e64 v4, v4, s31                                  // 0000000051E0: D1340004 00003F04
	s_barrier                                                  // 0000000051E8: BF8A0000
	s_cmp_eq_u32 s24, 0                                        // 0000000051EC: BF068018
	s_cbranch_scc0 label_0EFB                                  // 0000000051F0: BF8404FE
	s_atomic_dec s52, s[40:41], s62                            // 0000000051F4: C2300D14 0000003E
	s_branch label_0EFB                                        // 0000000051FC: BF8204FB

0000000000005200 <label_0A00>:
	v_lshrrev_b32_e32 v4, 4, v0                                // 000000005200: 20080084
	v_mul_u32_u24_e32 v31, 34, v4                              // 000000005204: 103E08A2
	v_and_b32_e32 v4, 15, v0                                   // 000000005208: 2608008F
	v_mul_lo_u32 v5, 2, v4                                     // 00000000520C: D2850005 00020882
	v_add_u32_e32 v31, v5, v31                                 // 000000005214: 683E3F05
	s_mul_i32 s31, s24, 0x88                                   // 000000005218: 921FFF18 00000088
	v_add_u32_e32 v31, s31, v31                                // 000000005220: 683E3E1F
	v_lshlrev_b32_e32 v31, 2, v31                              // 000000005224: 243E3E82
	v_and_b32_e32 v4, 31, v0                                   // 000000005228: 2608009F
	v_lshrrev_b32_e32 v5, 1, v4                                // 00000000522C: 200A0881
	v_mul_u32_u24_e32 v34, 34, v5                              // 000000005230: 10440AA2
	v_and_b32_e32 v5, 1, v4                                    // 000000005234: 260A0881
	v_add_u32_e32 v34, v5, v34                                 // 000000005238: 68444505
	v_lshrrev_b32_e32 v4, 5, v0                                // 00000000523C: 20080085
	v_mul_u32_u24_e32 v4, 8, v4                                // 000000005240: 10080888
	v_add_u32_e32 v34, v4, v34                                 // 000000005244: 68444504
	s_mul_i32 s31, s24, 2                                      // 000000005248: 921F8218
	v_add_u32_e32 v34, s31, v34                                // 00000000524C: 6844441F
	v_lshlrev_b32_e32 v34, 2, v34                              // 000000005250: 24444482
	s_waitcnt vmcnt(0) expcnt(0) lgkmcnt(0)                    // 000000005254: BF8C0000
	s_barrier                                                  // 000000005258: BF8A0000
	v_cmp_u_f32_e64 s[60:61], v36, v36                         // 00000000525C: D048003C 00024924
	v_add3_u32 v8, v36, v11, 1                                 // 000000005264: D1FF0008 02061724
	v_cndmask_b32_e64 v4, v8, v10, s[60:61]                    // 00000000526C: D1000004 00F21508
	v_cmp_u_f32_e64 s[60:61], v37, v37                         // 000000005274: D048003C 00024B25
	v_add3_u32 v8, v37, v11, 1                                 // 00000000527C: D1FF0008 02061725
	v_cndmask_b32_e64 v5, v8, v10, s[60:61]                    // 000000005284: D1000005 00F21508
	v_perm_b32 v60, v5, v4, s35                                // 00000000528C: D1ED003C 008E0905
	v_cmp_u_f32_e64 s[60:61], v38, v38                         // 000000005294: D048003C 00024D26
	v_add3_u32 v8, v38, v11, 1                                 // 00000000529C: D1FF0008 02061726
	v_cndmask_b32_e64 v4, v8, v10, s[60:61]                    // 0000000052A4: D1000004 00F21508
	v_cmp_u_f32_e64 s[60:61], v39, v39                         // 0000000052AC: D048003C 00024F27
	v_add3_u32 v8, v39, v11, 1                                 // 0000000052B4: D1FF0008 02061727
	v_cndmask_b32_e64 v5, v8, v10, s[60:61]                    // 0000000052BC: D1000005 00F21508
	v_perm_b32 v61, v5, v4, s35                                // 0000000052C4: D1ED003D 008E0905
	v_cmp_u_f32_e64 s[60:61], v40, v40                         // 0000000052CC: D048003C 00025128
	v_add3_u32 v8, v40, v11, 1                                 // 0000000052D4: D1FF0008 02061728
	v_cndmask_b32_e64 v4, v8, v10, s[60:61]                    // 0000000052DC: D1000004 00F21508
	v_cmp_u_f32_e64 s[60:61], v41, v41                         // 0000000052E4: D048003C 00025329
	v_add3_u32 v8, v41, v11, 1                                 // 0000000052EC: D1FF0008 02061729
	v_cndmask_b32_e64 v5, v8, v10, s[60:61]                    // 0000000052F4: D1000005 00F21508
	v_perm_b32 v62, v5, v4, s35                                // 0000000052FC: D1ED003E 008E0905
	v_cmp_u_f32_e64 s[60:61], v42, v42                         // 000000005304: D048003C 0002552A
	v_add3_u32 v8, v42, v11, 1                                 // 00000000530C: D1FF0008 0206172A
	v_cndmask_b32_e64 v4, v8, v10, s[60:61]                    // 000000005314: D1000004 00F21508
	v_cmp_u_f32_e64 s[60:61], v43, v43                         // 00000000531C: D048003C 0002572B
	v_add3_u32 v8, v43, v11, 1                                 // 000000005324: D1FF0008 0206172B
	v_cndmask_b32_e64 v5, v8, v10, s[60:61]                    // 00000000532C: D1000005 00F21508
	v_perm_b32 v63, v5, v4, s35                                // 000000005334: D1ED003F 008E0905
	v_cmp_u_f32_e64 s[60:61], v44, v44                         // 00000000533C: D048003C 0002592C
	v_add3_u32 v8, v44, v11, 1                                 // 000000005344: D1FF0008 0206172C
	v_cndmask_b32_e64 v4, v8, v10, s[60:61]                    // 00000000534C: D1000004 00F21508
	v_cmp_u_f32_e64 s[60:61], v45, v45                         // 000000005354: D048003C 00025B2D
	v_add3_u32 v8, v45, v11, 1                                 // 00000000535C: D1FF0008 0206172D
	v_cndmask_b32_e64 v5, v8, v10, s[60:61]                    // 000000005364: D1000005 00F21508
	v_perm_b32 v64, v5, v4, s35                                // 00000000536C: D1ED0040 008E0905
	v_cmp_u_f32_e64 s[60:61], v46, v46                         // 000000005374: D048003C 00025D2E
	v_add3_u32 v8, v46, v11, 1                                 // 00000000537C: D1FF0008 0206172E
	v_cndmask_b32_e64 v4, v8, v10, s[60:61]                    // 000000005384: D1000004 00F21508
	v_cmp_u_f32_e64 s[60:61], v47, v47                         // 00000000538C: D048003C 00025F2F
	v_add3_u32 v8, v47, v11, 1                                 // 000000005394: D1FF0008 0206172F
	v_cndmask_b32_e64 v5, v8, v10, s[60:61]                    // 00000000539C: D1000005 00F21508
	v_perm_b32 v65, v5, v4, s35                                // 0000000053A4: D1ED0041 008E0905
	v_cmp_u_f32_e64 s[60:61], v48, v48                         // 0000000053AC: D048003C 00026130
	v_add3_u32 v8, v48, v11, 1                                 // 0000000053B4: D1FF0008 02061730
	v_cndmask_b32_e64 v4, v8, v10, s[60:61]                    // 0000000053BC: D1000004 00F21508
	v_cmp_u_f32_e64 s[60:61], v49, v49                         // 0000000053C4: D048003C 00026331
	v_add3_u32 v8, v49, v11, 1                                 // 0000000053CC: D1FF0008 02061731
	v_cndmask_b32_e64 v5, v8, v10, s[60:61]                    // 0000000053D4: D1000005 00F21508
	v_perm_b32 v66, v5, v4, s35                                // 0000000053DC: D1ED0042 008E0905
	v_cmp_u_f32_e64 s[60:61], v50, v50                         // 0000000053E4: D048003C 00026532
	v_add3_u32 v8, v50, v11, 1                                 // 0000000053EC: D1FF0008 02061732
	v_cndmask_b32_e64 v4, v8, v10, s[60:61]                    // 0000000053F4: D1000004 00F21508
	v_cmp_u_f32_e64 s[60:61], v51, v51                         // 0000000053FC: D048003C 00026733
	v_add3_u32 v8, v51, v11, 1                                 // 000000005404: D1FF0008 02061733
	v_cndmask_b32_e64 v5, v8, v10, s[60:61]                    // 00000000540C: D1000005 00F21508
	v_perm_b32 v67, v5, v4, s35                                // 000000005414: D1ED0043 008E0905
	v_cmp_u_f32_e64 s[60:61], v52, v52                         // 00000000541C: D048003C 00026934
	v_add3_u32 v8, v52, v11, 1                                 // 000000005424: D1FF0008 02061734
	v_cndmask_b32_e64 v4, v8, v10, s[60:61]                    // 00000000542C: D1000004 00F21508
	v_cmp_u_f32_e64 s[60:61], v53, v53                         // 000000005434: D048003C 00026B35
	v_add3_u32 v8, v53, v11, 1                                 // 00000000543C: D1FF0008 02061735
	v_cndmask_b32_e64 v5, v8, v10, s[60:61]                    // 000000005444: D1000005 00F21508
	v_perm_b32 v68, v5, v4, s35                                // 00000000544C: D1ED0044 008E0905
	v_cmp_u_f32_e64 s[60:61], v54, v54                         // 000000005454: D048003C 00026D36
	v_add3_u32 v8, v54, v11, 1                                 // 00000000545C: D1FF0008 02061736
	v_cndmask_b32_e64 v4, v8, v10, s[60:61]                    // 000000005464: D1000004 00F21508
	v_cmp_u_f32_e64 s[60:61], v55, v55                         // 00000000546C: D048003C 00026F37
	v_add3_u32 v8, v55, v11, 1                                 // 000000005474: D1FF0008 02061737
	v_cndmask_b32_e64 v5, v8, v10, s[60:61]                    // 00000000547C: D1000005 00F21508
	v_perm_b32 v69, v5, v4, s35                                // 000000005484: D1ED0045 008E0905
	v_cmp_u_f32_e64 s[60:61], v56, v56                         // 00000000548C: D048003C 00027138
	v_add3_u32 v8, v56, v11, 1                                 // 000000005494: D1FF0008 02061738
	v_cndmask_b32_e64 v4, v8, v10, s[60:61]                    // 00000000549C: D1000004 00F21508
	v_cmp_u_f32_e64 s[60:61], v57, v57                         // 0000000054A4: D048003C 00027339
	v_add3_u32 v8, v57, v11, 1                                 // 0000000054AC: D1FF0008 02061739
	v_cndmask_b32_e64 v5, v8, v10, s[60:61]                    // 0000000054B4: D1000005 00F21508
	v_perm_b32 v70, v5, v4, s35                                // 0000000054BC: D1ED0046 008E0905
	v_cmp_u_f32_e64 s[60:61], v58, v58                         // 0000000054C4: D048003C 0002753A
	v_add3_u32 v8, v58, v11, 1                                 // 0000000054CC: D1FF0008 0206173A
	v_cndmask_b32_e64 v4, v8, v10, s[60:61]                    // 0000000054D4: D1000004 00F21508
	v_cmp_u_f32_e64 s[60:61], v59, v59                         // 0000000054DC: D048003C 0002773B
	v_add3_u32 v8, v59, v11, 1                                 // 0000000054E4: D1FF0008 0206173B
	v_cndmask_b32_e64 v5, v8, v10, s[60:61]                    // 0000000054EC: D1000005 00F21508
	v_perm_b32 v71, v5, v4, s35                                // 0000000054F4: D1ED0047 008E0905
	ds_write_b64 v31, v[60:61]                                 // 0000000054FC: D89A0000 00003C1F
	ds_write_b64 v31, v[62:63] offset:2176                     // 000000005504: D89A0880 00003E1F
	ds_write_b64 v31, v[64:65] offset:4352                     // 00000000550C: D89A1100 0000401F
	ds_write_b64 v31, v[66:67] offset:6528                     // 000000005514: D89A1980 0000421F
	ds_write_b64 v31, v[68:69] offset:8704                     // 00000000551C: D89A2200 0000441F
	ds_write_b64 v31, v[70:71] offset:10880                    // 000000005524: D89A2A80 0000461F
	s_waitcnt lgkmcnt(0)                                       // 00000000552C: BF8CC07F
	s_barrier                                                  // 000000005530: BF8A0000
	ds_read_b32 v60, v34                                       // 000000005534: D86C0000 3C000022
	ds_read_b32 v61, v34 offset:64                             // 00000000553C: D86C0040 3D000022
	ds_read_b32 v62, v34 offset:2176                           // 000000005544: D86C0880 3E000022
	ds_read_b32 v63, v34 offset:2240                           // 00000000554C: D86C08C0 3F000022
	ds_read_b32 v64, v34 offset:4352                           // 000000005554: D86C1100 40000022
	ds_read_b32 v65, v34 offset:4416                           // 00000000555C: D86C1140 41000022
	ds_read_b32 v66, v34 offset:6528                           // 000000005564: D86C1980 42000022
	ds_read_b32 v67, v34 offset:6592                           // 00000000556C: D86C19C0 43000022
	ds_read_b32 v68, v34 offset:8704                           // 000000005574: D86C2200 44000022
	ds_read_b32 v69, v34 offset:8768                           // 00000000557C: D86C2240 45000022
	ds_read_b32 v70, v34 offset:10880                          // 000000005584: D86C2A80 46000022
	ds_read_b32 v71, v34 offset:10944                          // 00000000558C: D86C2AC0 47000022
	s_waitcnt lgkmcnt(0)                                       // 000000005594: BF8CC07F
	s_cmp_eq_u32 s24, 0                                        // 000000005598: BF068018
	s_cbranch_scc0 label_0AEE                                  // 00000000559C: BF840006
	s_mov_b32 s31, 0                                           // 0000000055A0: BE9F0080

00000000000055a4 <label_0AE9>:
	s_load_dword s32, s[40:41], s62 glc                        // 0000000055A4: C0010814 0000003E
	s_waitcnt lgkmcnt(0)                                       // 0000000055AC: BF8CC07F
	s_cmp_gt_u32 s32, s31                                      // 0000000055B0: BF081F20
	s_cbranch_scc0 label_0AE9                                  // 0000000055B4: BF84FFFB

00000000000055b8 <label_0AEE>:
	s_barrier                                                  // 0000000055B8: BF8A0000
	s_mul_i32 s31, s30, 8                                      // 0000000055BC: 921F881E
	v_mov_b32_e32 v4, v18                                      // 0000000055C0: 7E080312
	global_atomic_pk_add_bf16 v4, v60, s[16:17]                // 0000000055C4: DD488000 00103C04
	v_add_u32_e64 v4, v4, s31                                  // 0000000055CC: D1340004 00003F04
	global_atomic_pk_add_bf16 v4, v61, s[16:17]                // 0000000055D4: DD488000 00103D04
	v_add_u32_e64 v4, v4, s31                                  // 0000000055DC: D1340004 00003F04
	global_atomic_pk_add_bf16 v4, v62, s[16:17]                // 0000000055E4: DD488000 00103E04
	v_add_u32_e64 v4, v4, s31                                  // 0000000055EC: D1340004 00003F04
	global_atomic_pk_add_bf16 v4, v63, s[16:17]                // 0000000055F4: DD488000 00103F04
	v_add_u32_e64 v4, v4, s31                                  // 0000000055FC: D1340004 00003F04
	global_atomic_pk_add_bf16 v4, v64, s[16:17]                // 000000005604: DD488000 00104004
	v_add_u32_e64 v4, v4, s31                                  // 00000000560C: D1340004 00003F04
	global_atomic_pk_add_bf16 v4, v65, s[16:17]                // 000000005614: DD488000 00104104
	v_add_u32_e64 v4, v4, s31                                  // 00000000561C: D1340004 00003F04
	global_atomic_pk_add_bf16 v4, v66, s[16:17]                // 000000005624: DD488000 00104204
	v_add_u32_e64 v4, v4, s31                                  // 00000000562C: D1340004 00003F04
	global_atomic_pk_add_bf16 v4, v67, s[16:17]                // 000000005634: DD488000 00104304
	v_add_u32_e64 v4, v4, s31                                  // 00000000563C: D1340004 00003F04
	global_atomic_pk_add_bf16 v4, v68, s[16:17]                // 000000005644: DD488000 00104404
	v_add_u32_e64 v4, v4, s31                                  // 00000000564C: D1340004 00003F04
	global_atomic_pk_add_bf16 v4, v69, s[16:17]                // 000000005654: DD488000 00104504
	v_add_u32_e64 v4, v4, s31                                  // 00000000565C: D1340004 00003F04
	global_atomic_pk_add_bf16 v4, v70, s[16:17]                // 000000005664: DD488000 00104604
	v_add_u32_e64 v4, v4, s31                                  // 00000000566C: D1340004 00003F04
	global_atomic_pk_add_bf16 v4, v71, s[16:17]                // 000000005674: DD488000 00104704
	v_add_u32_e64 v4, v4, s31                                  // 00000000567C: D1340004 00003F04
	s_barrier                                                  // 000000005684: BF8A0000
	s_cmp_eq_u32 s24, 0                                        // 000000005688: BF068018
	s_cbranch_scc0 label_0EFB                                  // 00000000568C: BF8403D7
	s_atomic_dec s52, s[40:41], s62                            // 000000005690: C2300D14 0000003E
	s_branch label_0EFB                                        // 000000005698: BF8203D4

000000000000569c <label_0B27>:
	v_mov_b32_e32 v5, 0                                        // 00000000569C: 7E0A0280
	s_and_b32 s17, s17, 0xffff                                 // 0000000056A0: 8611FF11 0000FFFF
	s_cmp_lt_u32 s54, 1                                        // 0000000056A8: BF0A8136
	s_cbranch_scc0 label_0C3F                                  // 0000000056AC: BF840113
	v_lshrrev_b32_e32 v4, 4, v0                                // 0000000056B0: 20080084
	v_mul_u32_u24_e32 v31, 0x44, v4                            // 0000000056B4: 103E08FF 00000044
	v_and_b32_e32 v4, 15, v0                                   // 0000000056BC: 2608008F
	v_mul_lo_u32 v5, 4, v4                                     // 0000000056C0: D2850005 00020884
	v_add_u32_e32 v31, v5, v31                                 // 0000000056C8: 683E3F05
	s_mul_i32 s31, s24, 0x110                                  // 0000000056CC: 921FFF18 00000110
	v_add_u32_e32 v31, s31, v31                                // 0000000056D4: 683E3E1F
	v_lshlrev_b32_e32 v31, 2, v31                              // 0000000056D8: 243E3E82
	v_lshrrev_b32_e32 v4, 2, v0                                // 0000000056DC: 20080082
	v_mul_u32_u24_e32 v34, 0x44, v4                            // 0000000056E0: 104408FF 00000044
	v_and_b32_e32 v4, 3, v0                                    // 0000000056E8: 26080083
	v_add_u32_e32 v34, v4, v34                                 // 0000000056EC: 68444504
	s_mul_i32 s31, s24, 4                                      // 0000000056F0: 921F8418
	v_add_u32_e32 v34, s31, v34                                // 0000000056F4: 6844441F
	v_lshlrev_b32_e32 v34, 2, v34                              // 0000000056F8: 24444482
	s_lshr_b32 s31, s55, 2                                     // 0000000056FC: 8F1F8237
	s_and_b32 s32, s55, 3                                      // 000000005700: 86208337
	s_cmp_lt_u32 s24, s32                                      // 000000005704: BF0A2018
	s_cselect_b32 s32, 1, 0                                    // 000000005708: 85208081
	s_add_u32 s55, s31, s32                                    // 00000000570C: 8037201F
	s_mov_b32 s33, 0                                           // 000000005710: BEA10080
	s_waitcnt vmcnt(0) expcnt(0) lgkmcnt(0)                    // 000000005714: BF8C0000
	s_barrier                                                  // 000000005718: BF8A0000
	ds_write_b128 v31, v[36:39]                                // 00000000571C: D9BE0000 0000241F
	ds_write_b128 v31, v[40:43] offset:4352                    // 000000005724: D9BE1100 0000281F
	ds_write_b128 v31, v[44:47] offset:8704                    // 00000000572C: D9BE2200 00002C1F
	ds_write_b128 v31, v[48:51] offset:13056                   // 000000005734: D9BE3300 0000301F
	ds_write_b128 v31, v[52:55] offset:17408                   // 00000000573C: D9BE4400 0000341F
	ds_write_b128 v31, v[56:59] offset:21760                   // 000000005744: D9BE5500 0000381F
	s_waitcnt lgkmcnt(0)                                       // 00000000574C: BF8CC07F
	s_barrier                                                  // 000000005750: BF8A0000
	ds_read_b32 v36, v34                                       // 000000005754: D86C0000 24000022
	ds_read_b32 v37, v34 offset:64                             // 00000000575C: D86C0040 25000022
	ds_read_b32 v38, v34 offset:128                            // 000000005764: D86C0080 26000022
	ds_read_b32 v39, v34 offset:192                            // 00000000576C: D86C00C0 27000022
	ds_read_b32 v40, v34 offset:4352                           // 000000005774: D86C1100 28000022
	ds_read_b32 v41, v34 offset:4416                           // 00000000577C: D86C1140 29000022
	ds_read_b32 v42, v34 offset:4480                           // 000000005784: D86C1180 2A000022
	ds_read_b32 v43, v34 offset:4544                           // 00000000578C: D86C11C0 2B000022
	ds_read_b32 v44, v34 offset:8704                           // 000000005794: D86C2200 2C000022
	ds_read_b32 v45, v34 offset:8768                           // 00000000579C: D86C2240 2D000022
	ds_read_b32 v46, v34 offset:8832                           // 0000000057A4: D86C2280 2E000022
	ds_read_b32 v47, v34 offset:8896                           // 0000000057AC: D86C22C0 2F000022
	ds_read_b32 v48, v34 offset:13056                          // 0000000057B4: D86C3300 30000022
	ds_read_b32 v49, v34 offset:13120                          // 0000000057BC: D86C3340 31000022
	ds_read_b32 v50, v34 offset:13184                          // 0000000057C4: D86C3380 32000022
	ds_read_b32 v51, v34 offset:13248                          // 0000000057CC: D86C33C0 33000022
	ds_read_b32 v52, v34 offset:17408                          // 0000000057D4: D86C4400 34000022
	ds_read_b32 v53, v34 offset:17472                          // 0000000057DC: D86C4440 35000022
	ds_read_b32 v54, v34 offset:17536                          // 0000000057E4: D86C4480 36000022
	ds_read_b32 v55, v34 offset:17600                          // 0000000057EC: D86C44C0 37000022
	ds_read_b32 v56, v34 offset:21760                          // 0000000057F4: D86C5500 38000022
	ds_read_b32 v57, v34 offset:21824                          // 0000000057FC: D86C5540 39000022
	ds_read_b32 v58, v34 offset:21888                          // 000000005804: D86C5580 3A000022
	ds_read_b32 v59, v34 offset:21952                          // 00000000580C: D86C55C0 3B000022
	s_waitcnt lgkmcnt(0)                                       // 000000005814: BF8CC07F
	s_cmp_eq_u32 s24, 0                                        // 000000005818: BF068018
	s_cbranch_scc0 label_0B8E                                  // 00000000581C: BF840006
	s_mov_b32 s31, 0                                           // 000000005820: BE9F0080

0000000000005824 <label_0B89>:
	s_load_dword s32, s[40:41], s62 glc                        // 000000005824: C0010814 0000003E
	s_waitcnt lgkmcnt(0)                                       // 00000000582C: BF8CC07F
	s_cmp_gt_u32 s32, s31                                      // 000000005830: BF081F20
	s_cbranch_scc0 label_0B89                                  // 000000005834: BF84FFFB

0000000000005838 <label_0B8E>:
	s_barrier                                                  // 000000005838: BF8A0000
	s_mul_i32 s31, s30, 4                                      // 00000000583C: 921F841E
	v_mov_b32_e32 v4, v18                                      // 000000005840: 7E080312
	s_cmp_lt_i32 s33, s55                                      // 000000005844: BF043721
	s_cbranch_scc0 label_0C39                                  // 000000005848: BF8400A6
	global_atomic_add_f32 v4, v36, s[16:17]                    // 00000000584C: DD348000 00102404
	v_add_u32_e64 v4, v4, s31                                  // 000000005854: D1340004 00003F04
	s_addk_i32 s33, 0x1                                        // 00000000585C: B7210001
	s_cmp_lt_i32 s33, s55                                      // 000000005860: BF043721
	s_cbranch_scc0 label_0C39                                  // 000000005864: BF84009F
	global_atomic_add_f32 v4, v37, s[16:17]                    // 000000005868: DD348000 00102504
	v_add_u32_e64 v4, v4, s31                                  // 000000005870: D1340004 00003F04
	s_addk_i32 s33, 0x1                                        // 000000005878: B7210001
	s_cmp_lt_i32 s33, s55                                      // 00000000587C: BF043721
	s_cbranch_scc0 label_0C39                                  // 000000005880: BF840098
	global_atomic_add_f32 v4, v38, s[16:17]                    // 000000005884: DD348000 00102604
	v_add_u32_e64 v4, v4, s31                                  // 00000000588C: D1340004 00003F04
	s_addk_i32 s33, 0x1                                        // 000000005894: B7210001
	s_cmp_lt_i32 s33, s55                                      // 000000005898: BF043721
	s_cbranch_scc0 label_0C39                                  // 00000000589C: BF840091
	global_atomic_add_f32 v4, v39, s[16:17]                    // 0000000058A0: DD348000 00102704
	v_add_u32_e64 v4, v4, s31                                  // 0000000058A8: D1340004 00003F04
	s_addk_i32 s33, 0x1                                        // 0000000058B0: B7210001
	s_cmp_lt_i32 s33, s55                                      // 0000000058B4: BF043721
	s_cbranch_scc0 label_0C39                                  // 0000000058B8: BF84008A
	global_atomic_add_f32 v4, v40, s[16:17]                    // 0000000058BC: DD348000 00102804
	v_add_u32_e64 v4, v4, s31                                  // 0000000058C4: D1340004 00003F04
	s_addk_i32 s33, 0x1                                        // 0000000058CC: B7210001
	s_cmp_lt_i32 s33, s55                                      // 0000000058D0: BF043721
	s_cbranch_scc0 label_0C39                                  // 0000000058D4: BF840083
	global_atomic_add_f32 v4, v41, s[16:17]                    // 0000000058D8: DD348000 00102904
	v_add_u32_e64 v4, v4, s31                                  // 0000000058E0: D1340004 00003F04
	s_addk_i32 s33, 0x1                                        // 0000000058E8: B7210001
	s_cmp_lt_i32 s33, s55                                      // 0000000058EC: BF043721
	s_cbranch_scc0 label_0C39                                  // 0000000058F0: BF84007C
	global_atomic_add_f32 v4, v42, s[16:17]                    // 0000000058F4: DD348000 00102A04
	v_add_u32_e64 v4, v4, s31                                  // 0000000058FC: D1340004 00003F04
	s_addk_i32 s33, 0x1                                        // 000000005904: B7210001
	s_cmp_lt_i32 s33, s55                                      // 000000005908: BF043721
	s_cbranch_scc0 label_0C39                                  // 00000000590C: BF840075
	global_atomic_add_f32 v4, v43, s[16:17]                    // 000000005910: DD348000 00102B04
	v_add_u32_e64 v4, v4, s31                                  // 000000005918: D1340004 00003F04
	s_addk_i32 s33, 0x1                                        // 000000005920: B7210001
	s_cmp_lt_i32 s33, s55                                      // 000000005924: BF043721
	s_cbranch_scc0 label_0C39                                  // 000000005928: BF84006E
	global_atomic_add_f32 v4, v44, s[16:17]                    // 00000000592C: DD348000 00102C04
	v_add_u32_e64 v4, v4, s31                                  // 000000005934: D1340004 00003F04
	s_addk_i32 s33, 0x1                                        // 00000000593C: B7210001
	s_cmp_lt_i32 s33, s55                                      // 000000005940: BF043721
	s_cbranch_scc0 label_0C39                                  // 000000005944: BF840067
	global_atomic_add_f32 v4, v45, s[16:17]                    // 000000005948: DD348000 00102D04
	v_add_u32_e64 v4, v4, s31                                  // 000000005950: D1340004 00003F04
	s_addk_i32 s33, 0x1                                        // 000000005958: B7210001
	s_cmp_lt_i32 s33, s55                                      // 00000000595C: BF043721
	s_cbranch_scc0 label_0C39                                  // 000000005960: BF840060
	global_atomic_add_f32 v4, v46, s[16:17]                    // 000000005964: DD348000 00102E04
	v_add_u32_e64 v4, v4, s31                                  // 00000000596C: D1340004 00003F04
	s_addk_i32 s33, 0x1                                        // 000000005974: B7210001
	s_cmp_lt_i32 s33, s55                                      // 000000005978: BF043721
	s_cbranch_scc0 label_0C39                                  // 00000000597C: BF840059
	global_atomic_add_f32 v4, v47, s[16:17]                    // 000000005980: DD348000 00102F04
	v_add_u32_e64 v4, v4, s31                                  // 000000005988: D1340004 00003F04
	s_addk_i32 s33, 0x1                                        // 000000005990: B7210001
	s_cmp_lt_i32 s33, s55                                      // 000000005994: BF043721
	s_cbranch_scc0 label_0C39                                  // 000000005998: BF840052
	global_atomic_add_f32 v4, v48, s[16:17]                    // 00000000599C: DD348000 00103004
	v_add_u32_e64 v4, v4, s31                                  // 0000000059A4: D1340004 00003F04
	s_addk_i32 s33, 0x1                                        // 0000000059AC: B7210001
	s_cmp_lt_i32 s33, s55                                      // 0000000059B0: BF043721
	s_cbranch_scc0 label_0C39                                  // 0000000059B4: BF84004B
	global_atomic_add_f32 v4, v49, s[16:17]                    // 0000000059B8: DD348000 00103104
	v_add_u32_e64 v4, v4, s31                                  // 0000000059C0: D1340004 00003F04
	s_addk_i32 s33, 0x1                                        // 0000000059C8: B7210001
	s_cmp_lt_i32 s33, s55                                      // 0000000059CC: BF043721
	s_cbranch_scc0 label_0C39                                  // 0000000059D0: BF840044
	global_atomic_add_f32 v4, v50, s[16:17]                    // 0000000059D4: DD348000 00103204
	v_add_u32_e64 v4, v4, s31                                  // 0000000059DC: D1340004 00003F04
	s_addk_i32 s33, 0x1                                        // 0000000059E4: B7210001
	s_cmp_lt_i32 s33, s55                                      // 0000000059E8: BF043721
	s_cbranch_scc0 label_0C39                                  // 0000000059EC: BF84003D
	global_atomic_add_f32 v4, v51, s[16:17]                    // 0000000059F0: DD348000 00103304
	v_add_u32_e64 v4, v4, s31                                  // 0000000059F8: D1340004 00003F04
	s_addk_i32 s33, 0x1                                        // 000000005A00: B7210001
	s_cmp_lt_i32 s33, s55                                      // 000000005A04: BF043721
	s_cbranch_scc0 label_0C39                                  // 000000005A08: BF840036
	global_atomic_add_f32 v4, v52, s[16:17]                    // 000000005A0C: DD348000 00103404
	v_add_u32_e64 v4, v4, s31                                  // 000000005A14: D1340004 00003F04
	s_addk_i32 s33, 0x1                                        // 000000005A1C: B7210001
	s_cmp_lt_i32 s33, s55                                      // 000000005A20: BF043721
	s_cbranch_scc0 label_0C39                                  // 000000005A24: BF84002F
	global_atomic_add_f32 v4, v53, s[16:17]                    // 000000005A28: DD348000 00103504
	v_add_u32_e64 v4, v4, s31                                  // 000000005A30: D1340004 00003F04
	s_addk_i32 s33, 0x1                                        // 000000005A38: B7210001
	s_cmp_lt_i32 s33, s55                                      // 000000005A3C: BF043721
	s_cbranch_scc0 label_0C39                                  // 000000005A40: BF840028
	global_atomic_add_f32 v4, v54, s[16:17]                    // 000000005A44: DD348000 00103604
	v_add_u32_e64 v4, v4, s31                                  // 000000005A4C: D1340004 00003F04
	s_addk_i32 s33, 0x1                                        // 000000005A54: B7210001
	s_cmp_lt_i32 s33, s55                                      // 000000005A58: BF043721
	s_cbranch_scc0 label_0C39                                  // 000000005A5C: BF840021
	global_atomic_add_f32 v4, v55, s[16:17]                    // 000000005A60: DD348000 00103704
	v_add_u32_e64 v4, v4, s31                                  // 000000005A68: D1340004 00003F04
	s_addk_i32 s33, 0x1                                        // 000000005A70: B7210001
	s_cmp_lt_i32 s33, s55                                      // 000000005A74: BF043721
	s_cbranch_scc0 label_0C39                                  // 000000005A78: BF84001A
	global_atomic_add_f32 v4, v56, s[16:17]                    // 000000005A7C: DD348000 00103804
	v_add_u32_e64 v4, v4, s31                                  // 000000005A84: D1340004 00003F04
	s_addk_i32 s33, 0x1                                        // 000000005A8C: B7210001
	s_cmp_lt_i32 s33, s55                                      // 000000005A90: BF043721
	s_cbranch_scc0 label_0C39                                  // 000000005A94: BF840013
	global_atomic_add_f32 v4, v57, s[16:17]                    // 000000005A98: DD348000 00103904
	v_add_u32_e64 v4, v4, s31                                  // 000000005AA0: D1340004 00003F04
	s_addk_i32 s33, 0x1                                        // 000000005AA8: B7210001
	s_cmp_lt_i32 s33, s55                                      // 000000005AAC: BF043721
	s_cbranch_scc0 label_0C39                                  // 000000005AB0: BF84000C
	global_atomic_add_f32 v4, v58, s[16:17]                    // 000000005AB4: DD348000 00103A04
	v_add_u32_e64 v4, v4, s31                                  // 000000005ABC: D1340004 00003F04
	s_addk_i32 s33, 0x1                                        // 000000005AC4: B7210001
	s_cmp_lt_i32 s33, s55                                      // 000000005AC8: BF043721
	s_cbranch_scc0 label_0C39                                  // 000000005ACC: BF840005
	global_atomic_add_f32 v4, v59, s[16:17]                    // 000000005AD0: DD348000 00103B04
	v_add_u32_e64 v4, v4, s31                                  // 000000005AD8: D1340004 00003F04
	s_addk_i32 s33, 0x1                                        // 000000005AE0: B7210001

0000000000005ae4 <label_0C39>:
	s_barrier                                                  // 000000005AE4: BF8A0000
	s_cmp_eq_u32 s24, 0                                        // 000000005AE8: BF068018
	s_cbranch_scc0 label_0EFB                                  // 000000005AEC: BF8402BF
	s_atomic_dec s52, s[40:41], s62                            // 000000005AF0: C2300D14 0000003E
	s_branch label_0EFB                                        // 000000005AF8: BF8202BC

0000000000005afc <label_0C3F>:
	v_lshrrev_b32_e32 v4, 4, v0                                // 000000005AFC: 20080084
	v_mul_u32_u24_e32 v31, 34, v4                              // 000000005B00: 103E08A2
	v_and_b32_e32 v4, 15, v0                                   // 000000005B04: 2608008F
	v_mul_lo_u32 v5, 2, v4                                     // 000000005B08: D2850005 00020882
	v_add_u32_e32 v31, v5, v31                                 // 000000005B10: 683E3F05
	s_mul_i32 s31, s24, 0x88                                   // 000000005B14: 921FFF18 00000088
	v_add_u32_e32 v31, s31, v31                                // 000000005B1C: 683E3E1F
	v_lshlrev_b32_e32 v31, 2, v31                              // 000000005B20: 243E3E82
	v_and_b32_e32 v4, 31, v0                                   // 000000005B24: 2608009F
	v_lshrrev_b32_e32 v5, 1, v4                                // 000000005B28: 200A0881
	v_mul_u32_u24_e32 v34, 34, v5                              // 000000005B2C: 10440AA2
	v_and_b32_e32 v5, 1, v4                                    // 000000005B30: 260A0881
	v_add_u32_e32 v34, v5, v34                                 // 000000005B34: 68444505
	v_lshrrev_b32_e32 v4, 5, v0                                // 000000005B38: 20080085
	v_mul_u32_u24_e32 v4, 8, v4                                // 000000005B3C: 10080888
	v_add_u32_e32 v34, v4, v34                                 // 000000005B40: 68444504
	s_mul_i32 s31, s24, 2                                      // 000000005B44: 921F8218
	v_add_u32_e32 v34, s31, v34                                // 000000005B48: 6844441F
	v_lshlrev_b32_e32 v34, 2, v34                              // 000000005B4C: 24444482
	s_lshr_b32 s31, s55, 2                                     // 000000005B50: 8F1F8237
	s_and_b32 s32, s55, 3                                      // 000000005B54: 86208337
	s_cmp_lt_u32 s24, s32                                      // 000000005B58: BF0A2018
	s_cselect_b32 s32, 1, 0                                    // 000000005B5C: 85208081
	s_add_u32 s55, s31, s32                                    // 000000005B60: 8037201F
	s_mov_b32 s33, 0                                           // 000000005B64: BEA10080
	s_waitcnt vmcnt(0) expcnt(0) lgkmcnt(0)                    // 000000005B68: BF8C0000
	s_barrier                                                  // 000000005B6C: BF8A0000
	v_cmp_u_f32_e64 s[60:61], v36, v36                         // 000000005B70: D048003C 00024924
	v_add3_u32 v8, v36, v11, 1                                 // 000000005B78: D1FF0008 02061724
	v_cndmask_b32_e64 v4, v8, v10, s[60:61]                    // 000000005B80: D1000004 00F21508
	v_cmp_u_f32_e64 s[60:61], v37, v37                         // 000000005B88: D048003C 00024B25
	v_add3_u32 v8, v37, v11, 1                                 // 000000005B90: D1FF0008 02061725
	v_cndmask_b32_e64 v5, v8, v10, s[60:61]                    // 000000005B98: D1000005 00F21508
	v_perm_b32 v60, v5, v4, s35                                // 000000005BA0: D1ED003C 008E0905
	v_cmp_u_f32_e64 s[60:61], v38, v38                         // 000000005BA8: D048003C 00024D26
	v_add3_u32 v8, v38, v11, 1                                 // 000000005BB0: D1FF0008 02061726
	v_cndmask_b32_e64 v4, v8, v10, s[60:61]                    // 000000005BB8: D1000004 00F21508
	v_cmp_u_f32_e64 s[60:61], v39, v39                         // 000000005BC0: D048003C 00024F27
	v_add3_u32 v8, v39, v11, 1                                 // 000000005BC8: D1FF0008 02061727
	v_cndmask_b32_e64 v5, v8, v10, s[60:61]                    // 000000005BD0: D1000005 00F21508
	v_perm_b32 v61, v5, v4, s35                                // 000000005BD8: D1ED003D 008E0905
	v_cmp_u_f32_e64 s[60:61], v40, v40                         // 000000005BE0: D048003C 00025128
	v_add3_u32 v8, v40, v11, 1                                 // 000000005BE8: D1FF0008 02061728
	v_cndmask_b32_e64 v4, v8, v10, s[60:61]                    // 000000005BF0: D1000004 00F21508
	v_cmp_u_f32_e64 s[60:61], v41, v41                         // 000000005BF8: D048003C 00025329
	v_add3_u32 v8, v41, v11, 1                                 // 000000005C00: D1FF0008 02061729
	v_cndmask_b32_e64 v5, v8, v10, s[60:61]                    // 000000005C08: D1000005 00F21508
	v_perm_b32 v62, v5, v4, s35                                // 000000005C10: D1ED003E 008E0905
	v_cmp_u_f32_e64 s[60:61], v42, v42                         // 000000005C18: D048003C 0002552A
	v_add3_u32 v8, v42, v11, 1                                 // 000000005C20: D1FF0008 0206172A
	v_cndmask_b32_e64 v4, v8, v10, s[60:61]                    // 000000005C28: D1000004 00F21508
	v_cmp_u_f32_e64 s[60:61], v43, v43                         // 000000005C30: D048003C 0002572B
	v_add3_u32 v8, v43, v11, 1                                 // 000000005C38: D1FF0008 0206172B
	v_cndmask_b32_e64 v5, v8, v10, s[60:61]                    // 000000005C40: D1000005 00F21508
	v_perm_b32 v63, v5, v4, s35                                // 000000005C48: D1ED003F 008E0905
	v_cmp_u_f32_e64 s[60:61], v44, v44                         // 000000005C50: D048003C 0002592C
	v_add3_u32 v8, v44, v11, 1                                 // 000000005C58: D1FF0008 0206172C
	v_cndmask_b32_e64 v4, v8, v10, s[60:61]                    // 000000005C60: D1000004 00F21508
	v_cmp_u_f32_e64 s[60:61], v45, v45                         // 000000005C68: D048003C 00025B2D
	v_add3_u32 v8, v45, v11, 1                                 // 000000005C70: D1FF0008 0206172D
	v_cndmask_b32_e64 v5, v8, v10, s[60:61]                    // 000000005C78: D1000005 00F21508
	v_perm_b32 v64, v5, v4, s35                                // 000000005C80: D1ED0040 008E0905
	v_cmp_u_f32_e64 s[60:61], v46, v46                         // 000000005C88: D048003C 00025D2E
	v_add3_u32 v8, v46, v11, 1                                 // 000000005C90: D1FF0008 0206172E
	v_cndmask_b32_e64 v4, v8, v10, s[60:61]                    // 000000005C98: D1000004 00F21508
	v_cmp_u_f32_e64 s[60:61], v47, v47                         // 000000005CA0: D048003C 00025F2F
	v_add3_u32 v8, v47, v11, 1                                 // 000000005CA8: D1FF0008 0206172F
	v_cndmask_b32_e64 v5, v8, v10, s[60:61]                    // 000000005CB0: D1000005 00F21508
	v_perm_b32 v65, v5, v4, s35                                // 000000005CB8: D1ED0041 008E0905
	v_cmp_u_f32_e64 s[60:61], v48, v48                         // 000000005CC0: D048003C 00026130
	v_add3_u32 v8, v48, v11, 1                                 // 000000005CC8: D1FF0008 02061730
	v_cndmask_b32_e64 v4, v8, v10, s[60:61]                    // 000000005CD0: D1000004 00F21508
	v_cmp_u_f32_e64 s[60:61], v49, v49                         // 000000005CD8: D048003C 00026331
	v_add3_u32 v8, v49, v11, 1                                 // 000000005CE0: D1FF0008 02061731
	v_cndmask_b32_e64 v5, v8, v10, s[60:61]                    // 000000005CE8: D1000005 00F21508
	v_perm_b32 v66, v5, v4, s35                                // 000000005CF0: D1ED0042 008E0905
	v_cmp_u_f32_e64 s[60:61], v50, v50                         // 000000005CF8: D048003C 00026532
	v_add3_u32 v8, v50, v11, 1                                 // 000000005D00: D1FF0008 02061732
	v_cndmask_b32_e64 v4, v8, v10, s[60:61]                    // 000000005D08: D1000004 00F21508
	v_cmp_u_f32_e64 s[60:61], v51, v51                         // 000000005D10: D048003C 00026733
	v_add3_u32 v8, v51, v11, 1                                 // 000000005D18: D1FF0008 02061733
	v_cndmask_b32_e64 v5, v8, v10, s[60:61]                    // 000000005D20: D1000005 00F21508
	v_perm_b32 v67, v5, v4, s35                                // 000000005D28: D1ED0043 008E0905
	v_cmp_u_f32_e64 s[60:61], v52, v52                         // 000000005D30: D048003C 00026934
	v_add3_u32 v8, v52, v11, 1                                 // 000000005D38: D1FF0008 02061734
	v_cndmask_b32_e64 v4, v8, v10, s[60:61]                    // 000000005D40: D1000004 00F21508
	v_cmp_u_f32_e64 s[60:61], v53, v53                         // 000000005D48: D048003C 00026B35
	v_add3_u32 v8, v53, v11, 1                                 // 000000005D50: D1FF0008 02061735
	v_cndmask_b32_e64 v5, v8, v10, s[60:61]                    // 000000005D58: D1000005 00F21508
	v_perm_b32 v68, v5, v4, s35                                // 000000005D60: D1ED0044 008E0905
	v_cmp_u_f32_e64 s[60:61], v54, v54                         // 000000005D68: D048003C 00026D36
	v_add3_u32 v8, v54, v11, 1                                 // 000000005D70: D1FF0008 02061736
	v_cndmask_b32_e64 v4, v8, v10, s[60:61]                    // 000000005D78: D1000004 00F21508
	v_cmp_u_f32_e64 s[60:61], v55, v55                         // 000000005D80: D048003C 00026F37
	v_add3_u32 v8, v55, v11, 1                                 // 000000005D88: D1FF0008 02061737
	v_cndmask_b32_e64 v5, v8, v10, s[60:61]                    // 000000005D90: D1000005 00F21508
	v_perm_b32 v69, v5, v4, s35                                // 000000005D98: D1ED0045 008E0905
	v_cmp_u_f32_e64 s[60:61], v56, v56                         // 000000005DA0: D048003C 00027138
	v_add3_u32 v8, v56, v11, 1                                 // 000000005DA8: D1FF0008 02061738
	v_cndmask_b32_e64 v4, v8, v10, s[60:61]                    // 000000005DB0: D1000004 00F21508
	v_cmp_u_f32_e64 s[60:61], v57, v57                         // 000000005DB8: D048003C 00027339
	v_add3_u32 v8, v57, v11, 1                                 // 000000005DC0: D1FF0008 02061739
	v_cndmask_b32_e64 v5, v8, v10, s[60:61]                    // 000000005DC8: D1000005 00F21508
	v_perm_b32 v70, v5, v4, s35                                // 000000005DD0: D1ED0046 008E0905
	v_cmp_u_f32_e64 s[60:61], v58, v58                         // 000000005DD8: D048003C 0002753A
	v_add3_u32 v8, v58, v11, 1                                 // 000000005DE0: D1FF0008 0206173A
	v_cndmask_b32_e64 v4, v8, v10, s[60:61]                    // 000000005DE8: D1000004 00F21508
	v_cmp_u_f32_e64 s[60:61], v59, v59                         // 000000005DF0: D048003C 0002773B
	v_add3_u32 v8, v59, v11, 1                                 // 000000005DF8: D1FF0008 0206173B
	v_cndmask_b32_e64 v5, v8, v10, s[60:61]                    // 000000005E00: D1000005 00F21508
	v_perm_b32 v71, v5, v4, s35                                // 000000005E08: D1ED0047 008E0905
	ds_write_b64 v31, v[60:61]                                 // 000000005E10: D89A0000 00003C1F
	ds_write_b64 v31, v[62:63] offset:2176                     // 000000005E18: D89A0880 00003E1F
	ds_write_b64 v31, v[64:65] offset:4352                     // 000000005E20: D89A1100 0000401F
	ds_write_b64 v31, v[66:67] offset:6528                     // 000000005E28: D89A1980 0000421F
	ds_write_b64 v31, v[68:69] offset:8704                     // 000000005E30: D89A2200 0000441F
	ds_write_b64 v31, v[70:71] offset:10880                    // 000000005E38: D89A2A80 0000461F
	s_waitcnt lgkmcnt(0)                                       // 000000005E40: BF8CC07F
	s_barrier                                                  // 000000005E44: BF8A0000
	ds_read_b32 v60, v34                                       // 000000005E48: D86C0000 3C000022
	ds_read_b32 v61, v34 offset:64                             // 000000005E50: D86C0040 3D000022
	ds_read_b32 v62, v34 offset:2176                           // 000000005E58: D86C0880 3E000022
	ds_read_b32 v63, v34 offset:2240                           // 000000005E60: D86C08C0 3F000022
	ds_read_b32 v64, v34 offset:4352                           // 000000005E68: D86C1100 40000022
	ds_read_b32 v65, v34 offset:4416                           // 000000005E70: D86C1140 41000022
	ds_read_b32 v66, v34 offset:6528                           // 000000005E78: D86C1980 42000022
	ds_read_b32 v67, v34 offset:6592                           // 000000005E80: D86C19C0 43000022
	ds_read_b32 v68, v34 offset:8704                           // 000000005E88: D86C2200 44000022
	ds_read_b32 v69, v34 offset:8768                           // 000000005E90: D86C2240 45000022
	ds_read_b32 v70, v34 offset:10880                          // 000000005E98: D86C2A80 46000022
	ds_read_b32 v71, v34 offset:10944                          // 000000005EA0: D86C2AC0 47000022
	s_waitcnt lgkmcnt(0)                                       // 000000005EA8: BF8CC07F
	s_cmp_eq_u32 s24, 0                                        // 000000005EAC: BF068018
	s_cbranch_scc0 label_0D33                                  // 000000005EB0: BF840006
	s_mov_b32 s31, 0                                           // 000000005EB4: BE9F0080

0000000000005eb8 <label_0D2E>:
	s_load_dword s32, s[40:41], s62 glc                        // 000000005EB8: C0010814 0000003E
	s_waitcnt lgkmcnt(0)                                       // 000000005EC0: BF8CC07F
	s_cmp_gt_u32 s32, s31                                      // 000000005EC4: BF081F20
	s_cbranch_scc0 label_0D2E                                  // 000000005EC8: BF84FFFB

0000000000005ecc <label_0D33>:
	s_barrier                                                  // 000000005ECC: BF8A0000
	s_mul_i32 s31, s30, 8                                      // 000000005ED0: 921F881E
	v_mov_b32_e32 v4, v18                                      // 000000005ED4: 7E080312
	s_cmp_lt_i32 s33, s55                                      // 000000005ED8: BF043721
	s_cbranch_scc0 label_0E32                                  // 000000005EDC: BF8400FA
	s_mov_b32 s58, -1                                          // 000000005EE0: BEBA00C1
	s_mov_b32 s59, 0                                           // 000000005EE4: BEBB0080
	s_mov_b64 exec, s[58:59]                                   // 000000005EE8: BEFE013A
	global_atomic_pk_add_bf16 v4, v60, s[16:17]                // 000000005EEC: DD488000 00103C04
	s_addk_i32 s33, 0x1                                        // 000000005EF4: B7210001
	s_cmp_lt_i32 s33, s55                                      // 000000005EF8: BF043721
	s_cbranch_scc0 label_0E32                                  // 000000005EFC: BF8400F2
	s_mov_b32 s58, 0                                           // 000000005F00: BEBA0080
	s_mov_b32 s59, -1                                          // 000000005F04: BEBB00C1
	s_mov_b64 exec, s[58:59]                                   // 000000005F08: BEFE013A
	global_atomic_pk_add_bf16 v4, v60, s[16:17]                // 000000005F0C: DD488000 00103C04
	s_addk_i32 s33, 0x1                                        // 000000005F14: B7210001
	s_mov_b32 s58, -1                                          // 000000005F18: BEBA00C1
	s_mov_b32 s59, -1                                          // 000000005F1C: BEBB00C1
	s_mov_b64 exec, s[58:59]                                   // 000000005F20: BEFE013A
	v_add_u32_e64 v4, v4, s31                                  // 000000005F24: D1340004 00003F04
	s_cmp_lt_i32 s33, s55                                      // 000000005F2C: BF043721
	s_cbranch_scc0 label_0E32                                  // 000000005F30: BF8400E5
	s_mov_b32 s58, -1                                          // 000000005F34: BEBA00C1
	s_mov_b32 s59, 0                                           // 000000005F38: BEBB0080
	s_mov_b64 exec, s[58:59]                                   // 000000005F3C: BEFE013A
	global_atomic_pk_add_bf16 v4, v61, s[16:17]                // 000000005F40: DD488000 00103D04
	s_addk_i32 s33, 0x1                                        // 000000005F48: B7210001
	s_cmp_lt_i32 s33, s55                                      // 000000005F4C: BF043721
	s_cbranch_scc0 label_0E32                                  // 000000005F50: BF8400DD
	s_mov_b32 s58, 0                                           // 000000005F54: BEBA0080
	s_mov_b32 s59, -1                                          // 000000005F58: BEBB00C1
	s_mov_b64 exec, s[58:59]                                   // 000000005F5C: BEFE013A
	global_atomic_pk_add_bf16 v4, v61, s[16:17]                // 000000005F60: DD488000 00103D04
	s_addk_i32 s33, 0x1                                        // 000000005F68: B7210001
	s_mov_b32 s58, -1                                          // 000000005F6C: BEBA00C1
	s_mov_b32 s59, -1                                          // 000000005F70: BEBB00C1
	s_mov_b64 exec, s[58:59]                                   // 000000005F74: BEFE013A
	v_add_u32_e64 v4, v4, s31                                  // 000000005F78: D1340004 00003F04
	s_cmp_lt_i32 s33, s55                                      // 000000005F80: BF043721
	s_cbranch_scc0 label_0E32                                  // 000000005F84: BF8400D0
	s_mov_b32 s58, -1                                          // 000000005F88: BEBA00C1
	s_mov_b32 s59, 0                                           // 000000005F8C: BEBB0080
	s_mov_b64 exec, s[58:59]                                   // 000000005F90: BEFE013A
	global_atomic_pk_add_bf16 v4, v62, s[16:17]                // 000000005F94: DD488000 00103E04
	s_addk_i32 s33, 0x1                                        // 000000005F9C: B7210001
	s_cmp_lt_i32 s33, s55                                      // 000000005FA0: BF043721
	s_cbranch_scc0 label_0E32                                  // 000000005FA4: BF8400C8
	s_mov_b32 s58, 0                                           // 000000005FA8: BEBA0080
	s_mov_b32 s59, -1                                          // 000000005FAC: BEBB00C1
	s_mov_b64 exec, s[58:59]                                   // 000000005FB0: BEFE013A
	global_atomic_pk_add_bf16 v4, v62, s[16:17]                // 000000005FB4: DD488000 00103E04
	s_addk_i32 s33, 0x1                                        // 000000005FBC: B7210001
	s_mov_b32 s58, -1                                          // 000000005FC0: BEBA00C1
	s_mov_b32 s59, -1                                          // 000000005FC4: BEBB00C1
	s_mov_b64 exec, s[58:59]                                   // 000000005FC8: BEFE013A
	v_add_u32_e64 v4, v4, s31                                  // 000000005FCC: D1340004 00003F04
	s_cmp_lt_i32 s33, s55                                      // 000000005FD4: BF043721
	s_cbranch_scc0 label_0E32                                  // 000000005FD8: BF8400BB
	s_mov_b32 s58, -1                                          // 000000005FDC: BEBA00C1
	s_mov_b32 s59, 0                                           // 000000005FE0: BEBB0080
	s_mov_b64 exec, s[58:59]                                   // 000000005FE4: BEFE013A
	global_atomic_pk_add_bf16 v4, v63, s[16:17]                // 000000005FE8: DD488000 00103F04
	s_addk_i32 s33, 0x1                                        // 000000005FF0: B7210001
	s_cmp_lt_i32 s33, s55                                      // 000000005FF4: BF043721
	s_cbranch_scc0 label_0E32                                  // 000000005FF8: BF8400B3
	s_mov_b32 s58, 0                                           // 000000005FFC: BEBA0080
	s_mov_b32 s59, -1                                          // 000000006000: BEBB00C1
	s_mov_b64 exec, s[58:59]                                   // 000000006004: BEFE013A
	global_atomic_pk_add_bf16 v4, v63, s[16:17]                // 000000006008: DD488000 00103F04
	s_addk_i32 s33, 0x1                                        // 000000006010: B7210001
	s_mov_b32 s58, -1                                          // 000000006014: BEBA00C1
	s_mov_b32 s59, -1                                          // 000000006018: BEBB00C1
	s_mov_b64 exec, s[58:59]                                   // 00000000601C: BEFE013A
	v_add_u32_e64 v4, v4, s31                                  // 000000006020: D1340004 00003F04
	s_cmp_lt_i32 s33, s55                                      // 000000006028: BF043721
	s_cbranch_scc0 label_0E32                                  // 00000000602C: BF8400A6
	s_mov_b32 s58, -1                                          // 000000006030: BEBA00C1
	s_mov_b32 s59, 0                                           // 000000006034: BEBB0080
	s_mov_b64 exec, s[58:59]                                   // 000000006038: BEFE013A
	global_atomic_pk_add_bf16 v4, v64, s[16:17]                // 00000000603C: DD488000 00104004
	s_addk_i32 s33, 0x1                                        // 000000006044: B7210001
	s_cmp_lt_i32 s33, s55                                      // 000000006048: BF043721
	s_cbranch_scc0 label_0E32                                  // 00000000604C: BF84009E
	s_mov_b32 s58, 0                                           // 000000006050: BEBA0080
	s_mov_b32 s59, -1                                          // 000000006054: BEBB00C1
	s_mov_b64 exec, s[58:59]                                   // 000000006058: BEFE013A
	global_atomic_pk_add_bf16 v4, v64, s[16:17]                // 00000000605C: DD488000 00104004
	s_addk_i32 s33, 0x1                                        // 000000006064: B7210001
	s_mov_b32 s58, -1                                          // 000000006068: BEBA00C1
	s_mov_b32 s59, -1                                          // 00000000606C: BEBB00C1
	s_mov_b64 exec, s[58:59]                                   // 000000006070: BEFE013A
	v_add_u32_e64 v4, v4, s31                                  // 000000006074: D1340004 00003F04
	s_cmp_lt_i32 s33, s55                                      // 00000000607C: BF043721
	s_cbranch_scc0 label_0E32                                  // 000000006080: BF840091
	s_mov_b32 s58, -1                                          // 000000006084: BEBA00C1
	s_mov_b32 s59, 0                                           // 000000006088: BEBB0080
	s_mov_b64 exec, s[58:59]                                   // 00000000608C: BEFE013A
	global_atomic_pk_add_bf16 v4, v65, s[16:17]                // 000000006090: DD488000 00104104
	s_addk_i32 s33, 0x1                                        // 000000006098: B7210001
	s_cmp_lt_i32 s33, s55                                      // 00000000609C: BF043721
	s_cbranch_scc0 label_0E32                                  // 0000000060A0: BF840089
	s_mov_b32 s58, 0                                           // 0000000060A4: BEBA0080
	s_mov_b32 s59, -1                                          // 0000000060A8: BEBB00C1
	s_mov_b64 exec, s[58:59]                                   // 0000000060AC: BEFE013A
	global_atomic_pk_add_bf16 v4, v65, s[16:17]                // 0000000060B0: DD488000 00104104
	s_addk_i32 s33, 0x1                                        // 0000000060B8: B7210001
	s_mov_b32 s58, -1                                          // 0000000060BC: BEBA00C1
	s_mov_b32 s59, -1                                          // 0000000060C0: BEBB00C1
	s_mov_b64 exec, s[58:59]                                   // 0000000060C4: BEFE013A
	v_add_u32_e64 v4, v4, s31                                  // 0000000060C8: D1340004 00003F04
	s_cmp_lt_i32 s33, s55                                      // 0000000060D0: BF043721
	s_cbranch_scc0 label_0E32                                  // 0000000060D4: BF84007C
	s_mov_b32 s58, -1                                          // 0000000060D8: BEBA00C1
	s_mov_b32 s59, 0                                           // 0000000060DC: BEBB0080
	s_mov_b64 exec, s[58:59]                                   // 0000000060E0: BEFE013A
	global_atomic_pk_add_bf16 v4, v66, s[16:17]                // 0000000060E4: DD488000 00104204
	s_addk_i32 s33, 0x1                                        // 0000000060EC: B7210001
	s_cmp_lt_i32 s33, s55                                      // 0000000060F0: BF043721
	s_cbranch_scc0 label_0E32                                  // 0000000060F4: BF840074
	s_mov_b32 s58, 0                                           // 0000000060F8: BEBA0080
	s_mov_b32 s59, -1                                          // 0000000060FC: BEBB00C1
	s_mov_b64 exec, s[58:59]                                   // 000000006100: BEFE013A
	global_atomic_pk_add_bf16 v4, v66, s[16:17]                // 000000006104: DD488000 00104204
	s_addk_i32 s33, 0x1                                        // 00000000610C: B7210001
	s_mov_b32 s58, -1                                          // 000000006110: BEBA00C1
	s_mov_b32 s59, -1                                          // 000000006114: BEBB00C1
	s_mov_b64 exec, s[58:59]                                   // 000000006118: BEFE013A
	v_add_u32_e64 v4, v4, s31                                  // 00000000611C: D1340004 00003F04
	s_cmp_lt_i32 s33, s55                                      // 000000006124: BF043721
	s_cbranch_scc0 label_0E32                                  // 000000006128: BF840067
	s_mov_b32 s58, -1                                          // 00000000612C: BEBA00C1
	s_mov_b32 s59, 0                                           // 000000006130: BEBB0080
	s_mov_b64 exec, s[58:59]                                   // 000000006134: BEFE013A
	global_atomic_pk_add_bf16 v4, v67, s[16:17]                // 000000006138: DD488000 00104304
	s_addk_i32 s33, 0x1                                        // 000000006140: B7210001
	s_cmp_lt_i32 s33, s55                                      // 000000006144: BF043721
	s_cbranch_scc0 label_0E32                                  // 000000006148: BF84005F
	s_mov_b32 s58, 0                                           // 00000000614C: BEBA0080
	s_mov_b32 s59, -1                                          // 000000006150: BEBB00C1
	s_mov_b64 exec, s[58:59]                                   // 000000006154: BEFE013A
	global_atomic_pk_add_bf16 v4, v67, s[16:17]                // 000000006158: DD488000 00104304
	s_addk_i32 s33, 0x1                                        // 000000006160: B7210001
	s_mov_b32 s58, -1                                          // 000000006164: BEBA00C1
	s_mov_b32 s59, -1                                          // 000000006168: BEBB00C1
	s_mov_b64 exec, s[58:59]                                   // 00000000616C: BEFE013A
	v_add_u32_e64 v4, v4, s31                                  // 000000006170: D1340004 00003F04
	s_cmp_lt_i32 s33, s55                                      // 000000006178: BF043721
	s_cbranch_scc0 label_0E32                                  // 00000000617C: BF840052
	s_mov_b32 s58, -1                                          // 000000006180: BEBA00C1
	s_mov_b32 s59, 0                                           // 000000006184: BEBB0080
	s_mov_b64 exec, s[58:59]                                   // 000000006188: BEFE013A
	global_atomic_pk_add_bf16 v4, v68, s[16:17]                // 00000000618C: DD488000 00104404
	s_addk_i32 s33, 0x1                                        // 000000006194: B7210001
	s_cmp_lt_i32 s33, s55                                      // 000000006198: BF043721
	s_cbranch_scc0 label_0E32                                  // 00000000619C: BF84004A
	s_mov_b32 s58, 0                                           // 0000000061A0: BEBA0080
	s_mov_b32 s59, -1                                          // 0000000061A4: BEBB00C1
	s_mov_b64 exec, s[58:59]                                   // 0000000061A8: BEFE013A
	global_atomic_pk_add_bf16 v4, v68, s[16:17]                // 0000000061AC: DD488000 00104404
	s_addk_i32 s33, 0x1                                        // 0000000061B4: B7210001
	s_mov_b32 s58, -1                                          // 0000000061B8: BEBA00C1
	s_mov_b32 s59, -1                                          // 0000000061BC: BEBB00C1
	s_mov_b64 exec, s[58:59]                                   // 0000000061C0: BEFE013A
	v_add_u32_e64 v4, v4, s31                                  // 0000000061C4: D1340004 00003F04
	s_cmp_lt_i32 s33, s55                                      // 0000000061CC: BF043721
	s_cbranch_scc0 label_0E32                                  // 0000000061D0: BF84003D
	s_mov_b32 s58, -1                                          // 0000000061D4: BEBA00C1
	s_mov_b32 s59, 0                                           // 0000000061D8: BEBB0080
	s_mov_b64 exec, s[58:59]                                   // 0000000061DC: BEFE013A
	global_atomic_pk_add_bf16 v4, v69, s[16:17]                // 0000000061E0: DD488000 00104504
	s_addk_i32 s33, 0x1                                        // 0000000061E8: B7210001
	s_cmp_lt_i32 s33, s55                                      // 0000000061EC: BF043721
	s_cbranch_scc0 label_0E32                                  // 0000000061F0: BF840035
	s_mov_b32 s58, 0                                           // 0000000061F4: BEBA0080
	s_mov_b32 s59, -1                                          // 0000000061F8: BEBB00C1
	s_mov_b64 exec, s[58:59]                                   // 0000000061FC: BEFE013A
	global_atomic_pk_add_bf16 v4, v69, s[16:17]                // 000000006200: DD488000 00104504
	s_addk_i32 s33, 0x1                                        // 000000006208: B7210001
	s_mov_b32 s58, -1                                          // 00000000620C: BEBA00C1
	s_mov_b32 s59, -1                                          // 000000006210: BEBB00C1
	s_mov_b64 exec, s[58:59]                                   // 000000006214: BEFE013A
	v_add_u32_e64 v4, v4, s31                                  // 000000006218: D1340004 00003F04
	s_cmp_lt_i32 s33, s55                                      // 000000006220: BF043721
	s_cbranch_scc0 label_0E32                                  // 000000006224: BF840028
	s_mov_b32 s58, -1                                          // 000000006228: BEBA00C1
	s_mov_b32 s59, 0                                           // 00000000622C: BEBB0080
	s_mov_b64 exec, s[58:59]                                   // 000000006230: BEFE013A
	global_atomic_pk_add_bf16 v4, v70, s[16:17]                // 000000006234: DD488000 00104604
	s_addk_i32 s33, 0x1                                        // 00000000623C: B7210001
	s_cmp_lt_i32 s33, s55                                      // 000000006240: BF043721
	s_cbranch_scc0 label_0E32                                  // 000000006244: BF840020
	s_mov_b32 s58, 0                                           // 000000006248: BEBA0080
	s_mov_b32 s59, -1                                          // 00000000624C: BEBB00C1
	s_mov_b64 exec, s[58:59]                                   // 000000006250: BEFE013A
	global_atomic_pk_add_bf16 v4, v70, s[16:17]                // 000000006254: DD488000 00104604
	s_addk_i32 s33, 0x1                                        // 00000000625C: B7210001
	s_mov_b32 s58, -1                                          // 000000006260: BEBA00C1
	s_mov_b32 s59, -1                                          // 000000006264: BEBB00C1
	s_mov_b64 exec, s[58:59]                                   // 000000006268: BEFE013A
	v_add_u32_e64 v4, v4, s31                                  // 00000000626C: D1340004 00003F04
	s_cmp_lt_i32 s33, s55                                      // 000000006274: BF043721
	s_cbranch_scc0 label_0E32                                  // 000000006278: BF840013
	s_mov_b32 s58, -1                                          // 00000000627C: BEBA00C1
	s_mov_b32 s59, 0                                           // 000000006280: BEBB0080
	s_mov_b64 exec, s[58:59]                                   // 000000006284: BEFE013A
	global_atomic_pk_add_bf16 v4, v71, s[16:17]                // 000000006288: DD488000 00104704
	s_addk_i32 s33, 0x1                                        // 000000006290: B7210001
	s_cmp_lt_i32 s33, s55                                      // 000000006294: BF043721
	s_cbranch_scc0 label_0E32                                  // 000000006298: BF84000B
	s_mov_b32 s58, 0                                           // 00000000629C: BEBA0080
	s_mov_b32 s59, -1                                          // 0000000062A0: BEBB00C1
	s_mov_b64 exec, s[58:59]                                   // 0000000062A4: BEFE013A
	global_atomic_pk_add_bf16 v4, v71, s[16:17]                // 0000000062A8: DD488000 00104704
	s_addk_i32 s33, 0x1                                        // 0000000062B0: B7210001
	s_mov_b32 s58, -1                                          // 0000000062B4: BEBA00C1
	s_mov_b32 s59, -1                                          // 0000000062B8: BEBB00C1
	s_mov_b64 exec, s[58:59]                                   // 0000000062BC: BEFE013A
	v_add_u32_e64 v4, v4, s31                                  // 0000000062C0: D1340004 00003F04

00000000000062c8 <label_0E32>:
	s_barrier                                                  // 0000000062C8: BF8A0000
	s_cmp_eq_u32 s24, 0                                        // 0000000062CC: BF068018
	s_cbranch_scc0 label_0EFB                                  // 0000000062D0: BF8400C6
	s_atomic_dec s52, s[40:41], s62                            // 0000000062D4: C2300D14 0000003E
	s_branch label_0EFB                                        // 0000000062DC: BF8200C3

00000000000062e0 <label_0E38>:
	s_cmp_lt_u32 s54, 1                                        // 0000000062E0: BF0A8136
	s_cbranch_scc0 label_0E47                                  // 0000000062E4: BF84000D
	buffer_store_dwordx4 v[36:39], v12, s[16:19], 0 offen      // 0000000062E8: E07C1000 8004240C
	buffer_store_dwordx4 v[40:43], v13, s[16:19], 0 offen      // 0000000062F0: E07C1000 8004280D
	buffer_store_dwordx4 v[44:47], v14, s[16:19], 0 offen      // 0000000062F8: E07C1000 80042C0E
	buffer_store_dwordx4 v[48:51], v15, s[16:19], 0 offen      // 000000006300: E07C1000 8004300F
	buffer_store_dwordx4 v[52:55], v16, s[16:19], 0 offen      // 000000006308: E07C1000 80043410
	buffer_store_dwordx4 v[56:59], v17, s[16:19], 0 offen      // 000000006310: E07C1000 80043811
	s_branch label_0EFB                                        // 000000006318: BF8200B4

000000000000631c <label_0E47>:
	v_cmp_u_f32_e64 s[60:61], v36, v36                         // 00000000631C: D048003C 00024924
	v_add3_u32 v8, v36, v11, 1                                 // 000000006324: D1FF0008 02061724
	v_cndmask_b32_e64 v4, v8, v10, s[60:61]                    // 00000000632C: D1000004 00F21508
	v_cmp_u_f32_e64 s[60:61], v37, v37                         // 000000006334: D048003C 00024B25
	v_add3_u32 v8, v37, v11, 1                                 // 00000000633C: D1FF0008 02061725
	v_cndmask_b32_e64 v5, v8, v10, s[60:61]                    // 000000006344: D1000005 00F21508
	v_perm_b32 v60, v5, v4, s35                                // 00000000634C: D1ED003C 008E0905
	v_cmp_u_f32_e64 s[60:61], v38, v38                         // 000000006354: D048003C 00024D26
	v_add3_u32 v8, v38, v11, 1                                 // 00000000635C: D1FF0008 02061726
	v_cndmask_b32_e64 v4, v8, v10, s[60:61]                    // 000000006364: D1000004 00F21508
	v_cmp_u_f32_e64 s[60:61], v39, v39                         // 00000000636C: D048003C 00024F27
	v_add3_u32 v8, v39, v11, 1                                 // 000000006374: D1FF0008 02061727
	v_cndmask_b32_e64 v5, v8, v10, s[60:61]                    // 00000000637C: D1000005 00F21508
	v_perm_b32 v61, v5, v4, s35                                // 000000006384: D1ED003D 008E0905
	buffer_store_dwordx2 v[60:61], v12, s[16:19], 0 offen      // 00000000638C: E0741000 80043C0C
	v_cmp_u_f32_e64 s[60:61], v40, v40                         // 000000006394: D048003C 00025128
	v_add3_u32 v8, v40, v11, 1                                 // 00000000639C: D1FF0008 02061728
	v_cndmask_b32_e64 v4, v8, v10, s[60:61]                    // 0000000063A4: D1000004 00F21508
	v_cmp_u_f32_e64 s[60:61], v41, v41                         // 0000000063AC: D048003C 00025329
	v_add3_u32 v8, v41, v11, 1                                 // 0000000063B4: D1FF0008 02061729
	v_cndmask_b32_e64 v5, v8, v10, s[60:61]                    // 0000000063BC: D1000005 00F21508
	v_perm_b32 v62, v5, v4, s35                                // 0000000063C4: D1ED003E 008E0905
	v_cmp_u_f32_e64 s[60:61], v42, v42                         // 0000000063CC: D048003C 0002552A
	v_add3_u32 v8, v42, v11, 1                                 // 0000000063D4: D1FF0008 0206172A
	v_cndmask_b32_e64 v4, v8, v10, s[60:61]                    // 0000000063DC: D1000004 00F21508
	v_cmp_u_f32_e64 s[60:61], v43, v43                         // 0000000063E4: D048003C 0002572B
	v_add3_u32 v8, v43, v11, 1                                 // 0000000063EC: D1FF0008 0206172B
	v_cndmask_b32_e64 v5, v8, v10, s[60:61]                    // 0000000063F4: D1000005 00F21508
	v_perm_b32 v63, v5, v4, s35                                // 0000000063FC: D1ED003F 008E0905
	buffer_store_dwordx2 v[62:63], v13, s[16:19], 0 offen      // 000000006404: E0741000 80043E0D
	v_cmp_u_f32_e64 s[60:61], v44, v44                         // 00000000640C: D048003C 0002592C
	v_add3_u32 v8, v44, v11, 1                                 // 000000006414: D1FF0008 0206172C
	v_cndmask_b32_e64 v4, v8, v10, s[60:61]                    // 00000000641C: D1000004 00F21508
	v_cmp_u_f32_e64 s[60:61], v45, v45                         // 000000006424: D048003C 00025B2D
	v_add3_u32 v8, v45, v11, 1                                 // 00000000642C: D1FF0008 0206172D
	v_cndmask_b32_e64 v5, v8, v10, s[60:61]                    // 000000006434: D1000005 00F21508
	v_perm_b32 v64, v5, v4, s35                                // 00000000643C: D1ED0040 008E0905
	v_cmp_u_f32_e64 s[60:61], v46, v46                         // 000000006444: D048003C 00025D2E
	v_add3_u32 v8, v46, v11, 1                                 // 00000000644C: D1FF0008 0206172E
	v_cndmask_b32_e64 v4, v8, v10, s[60:61]                    // 000000006454: D1000004 00F21508
	v_cmp_u_f32_e64 s[60:61], v47, v47                         // 00000000645C: D048003C 00025F2F
	v_add3_u32 v8, v47, v11, 1                                 // 000000006464: D1FF0008 0206172F
	v_cndmask_b32_e64 v5, v8, v10, s[60:61]                    // 00000000646C: D1000005 00F21508
	v_perm_b32 v65, v5, v4, s35                                // 000000006474: D1ED0041 008E0905
	buffer_store_dwordx2 v[64:65], v14, s[16:19], 0 offen      // 00000000647C: E0741000 8004400E
	v_cmp_u_f32_e64 s[60:61], v48, v48                         // 000000006484: D048003C 00026130
	v_add3_u32 v8, v48, v11, 1                                 // 00000000648C: D1FF0008 02061730
	v_cndmask_b32_e64 v4, v8, v10, s[60:61]                    // 000000006494: D1000004 00F21508
	v_cmp_u_f32_e64 s[60:61], v49, v49                         // 00000000649C: D048003C 00026331
	v_add3_u32 v8, v49, v11, 1                                 // 0000000064A4: D1FF0008 02061731
	v_cndmask_b32_e64 v5, v8, v10, s[60:61]                    // 0000000064AC: D1000005 00F21508
	v_perm_b32 v66, v5, v4, s35                                // 0000000064B4: D1ED0042 008E0905
	v_cmp_u_f32_e64 s[60:61], v50, v50                         // 0000000064BC: D048003C 00026532
	v_add3_u32 v8, v50, v11, 1                                 // 0000000064C4: D1FF0008 02061732
	v_cndmask_b32_e64 v4, v8, v10, s[60:61]                    // 0000000064CC: D1000004 00F21508
	v_cmp_u_f32_e64 s[60:61], v51, v51                         // 0000000064D4: D048003C 00026733
	v_add3_u32 v8, v51, v11, 1                                 // 0000000064DC: D1FF0008 02061733
	v_cndmask_b32_e64 v5, v8, v10, s[60:61]                    // 0000000064E4: D1000005 00F21508
	v_perm_b32 v67, v5, v4, s35                                // 0000000064EC: D1ED0043 008E0905
	buffer_store_dwordx2 v[66:67], v15, s[16:19], 0 offen      // 0000000064F4: E0741000 8004420F
	v_cmp_u_f32_e64 s[60:61], v52, v52                         // 0000000064FC: D048003C 00026934
	v_add3_u32 v8, v52, v11, 1                                 // 000000006504: D1FF0008 02061734
	v_cndmask_b32_e64 v4, v8, v10, s[60:61]                    // 00000000650C: D1000004 00F21508
	v_cmp_u_f32_e64 s[60:61], v53, v53                         // 000000006514: D048003C 00026B35
	v_add3_u32 v8, v53, v11, 1                                 // 00000000651C: D1FF0008 02061735
	v_cndmask_b32_e64 v5, v8, v10, s[60:61]                    // 000000006524: D1000005 00F21508
	v_perm_b32 v68, v5, v4, s35                                // 00000000652C: D1ED0044 008E0905
	v_cmp_u_f32_e64 s[60:61], v54, v54                         // 000000006534: D048003C 00026D36
	v_add3_u32 v8, v54, v11, 1                                 // 00000000653C: D1FF0008 02061736
	v_cndmask_b32_e64 v4, v8, v10, s[60:61]                    // 000000006544: D1000004 00F21508
	v_cmp_u_f32_e64 s[60:61], v55, v55                         // 00000000654C: D048003C 00026F37
	v_add3_u32 v8, v55, v11, 1                                 // 000000006554: D1FF0008 02061737
	v_cndmask_b32_e64 v5, v8, v10, s[60:61]                    // 00000000655C: D1000005 00F21508
	v_perm_b32 v69, v5, v4, s35                                // 000000006564: D1ED0045 008E0905
	buffer_store_dwordx2 v[68:69], v16, s[16:19], 0 offen      // 00000000656C: E0741000 80044410
	v_cmp_u_f32_e64 s[60:61], v56, v56                         // 000000006574: D048003C 00027138
	v_add3_u32 v8, v56, v11, 1                                 // 00000000657C: D1FF0008 02061738
	v_cndmask_b32_e64 v4, v8, v10, s[60:61]                    // 000000006584: D1000004 00F21508
	v_cmp_u_f32_e64 s[60:61], v57, v57                         // 00000000658C: D048003C 00027339
	v_add3_u32 v8, v57, v11, 1                                 // 000000006594: D1FF0008 02061739
	v_cndmask_b32_e64 v5, v8, v10, s[60:61]                    // 00000000659C: D1000005 00F21508
	v_perm_b32 v70, v5, v4, s35                                // 0000000065A4: D1ED0046 008E0905
	v_cmp_u_f32_e64 s[60:61], v58, v58                         // 0000000065AC: D048003C 0002753A
	v_add3_u32 v8, v58, v11, 1                                 // 0000000065B4: D1FF0008 0206173A
	v_cndmask_b32_e64 v4, v8, v10, s[60:61]                    // 0000000065BC: D1000004 00F21508
	v_cmp_u_f32_e64 s[60:61], v59, v59                         // 0000000065C4: D048003C 0002773B
	v_add3_u32 v8, v59, v11, 1                                 // 0000000065CC: D1FF0008 0206173B
	v_cndmask_b32_e64 v5, v8, v10, s[60:61]                    // 0000000065D4: D1000005 00F21508
	v_perm_b32 v71, v5, v4, s35                                // 0000000065DC: D1ED0047 008E0905
	buffer_store_dwordx2 v[70:71], v17, s[16:19], 0 offen      // 0000000065E4: E0741000 80044611

00000000000065ec <label_0EFB>:
	s_waitcnt vmcnt(0) expcnt(0) lgkmcnt(0)                    // 0000000065EC: BF8C0000
	s_endpgm                                                   // 0000000065F0: BF810000
